;; amdgpu-corpus repo=ROCm/rocFFT kind=compiled arch=gfx950 opt=O3
	.text
	.amdgcn_target "amdgcn-amd-amdhsa--gfx950"
	.amdhsa_code_object_version 6
	.protected	fft_rtc_fwd_len1260_factors_2_2_3_3_5_7_wgs_63_tpt_63_halfLds_dp_op_CI_CI_unitstride_sbrr_C2R_dirReg ; -- Begin function fft_rtc_fwd_len1260_factors_2_2_3_3_5_7_wgs_63_tpt_63_halfLds_dp_op_CI_CI_unitstride_sbrr_C2R_dirReg
	.globl	fft_rtc_fwd_len1260_factors_2_2_3_3_5_7_wgs_63_tpt_63_halfLds_dp_op_CI_CI_unitstride_sbrr_C2R_dirReg
	.p2align	8
	.type	fft_rtc_fwd_len1260_factors_2_2_3_3_5_7_wgs_63_tpt_63_halfLds_dp_op_CI_CI_unitstride_sbrr_C2R_dirReg,@function
fft_rtc_fwd_len1260_factors_2_2_3_3_5_7_wgs_63_tpt_63_halfLds_dp_op_CI_CI_unitstride_sbrr_C2R_dirReg: ; @fft_rtc_fwd_len1260_factors_2_2_3_3_5_7_wgs_63_tpt_63_halfLds_dp_op_CI_CI_unitstride_sbrr_C2R_dirReg
; %bb.0:
	s_load_dwordx4 s[4:7], s[0:1], 0x58
	s_load_dwordx4 s[8:11], s[0:1], 0x0
	;; [unrolled: 1-line block ×3, first 2 shown]
	v_mul_u32_u24_e32 v1, 0x411, v0
	v_add_u32_sdwa v6, s2, v1 dst_sel:DWORD dst_unused:UNUSED_PAD src0_sel:DWORD src1_sel:WORD_1
	v_mov_b32_e32 v4, 0
	s_waitcnt lgkmcnt(0)
	v_cmp_lt_u64_e64 s[2:3], s[10:11], 2
	v_mov_b32_e32 v7, v4
	s_and_b64 vcc, exec, s[2:3]
	v_mov_b64_e32 v[2:3], 0
	s_cbranch_vccnz .LBB0_8
; %bb.1:
	s_load_dwordx2 s[2:3], s[0:1], 0x10
	s_add_u32 s16, s14, 8
	s_addc_u32 s17, s15, 0
	s_add_u32 s18, s12, 8
	s_addc_u32 s19, s13, 0
	s_waitcnt lgkmcnt(0)
	s_add_u32 s20, s2, 8
	v_mov_b64_e32 v[2:3], 0
	s_addc_u32 s21, s3, 0
	s_mov_b64 s[22:23], 1
	v_mov_b64_e32 v[108:109], v[2:3]
.LBB0_2:                                ; =>This Inner Loop Header: Depth=1
	s_load_dwordx2 s[24:25], s[20:21], 0x0
                                        ; implicit-def: $vgpr112_vgpr113
	s_waitcnt lgkmcnt(0)
	v_or_b32_e32 v5, s25, v7
	v_cmp_ne_u64_e32 vcc, 0, v[4:5]
	s_and_saveexec_b64 s[2:3], vcc
	s_xor_b64 s[26:27], exec, s[2:3]
	s_cbranch_execz .LBB0_4
; %bb.3:                                ;   in Loop: Header=BB0_2 Depth=1
	v_cvt_f32_u32_e32 v1, s24
	v_cvt_f32_u32_e32 v5, s25
	s_sub_u32 s2, 0, s24
	s_subb_u32 s3, 0, s25
	v_fmac_f32_e32 v1, 0x4f800000, v5
	v_rcp_f32_e32 v1, v1
	s_nop 0
	v_mul_f32_e32 v1, 0x5f7ffffc, v1
	v_mul_f32_e32 v5, 0x2f800000, v1
	v_trunc_f32_e32 v5, v5
	v_fmac_f32_e32 v1, 0xcf800000, v5
	v_cvt_u32_f32_e32 v5, v5
	v_cvt_u32_f32_e32 v1, v1
	v_mul_lo_u32 v8, s2, v5
	v_mul_hi_u32 v10, s2, v1
	v_mul_lo_u32 v9, s3, v1
	v_add_u32_e32 v10, v10, v8
	v_mul_lo_u32 v12, s2, v1
	v_add_u32_e32 v13, v10, v9
	v_mul_hi_u32 v8, v1, v12
	v_mul_hi_u32 v11, v1, v13
	v_mul_lo_u32 v10, v1, v13
	v_mov_b32_e32 v9, v4
	v_lshl_add_u64 v[8:9], v[8:9], 0, v[10:11]
	v_mul_hi_u32 v11, v5, v12
	v_mul_lo_u32 v12, v5, v12
	v_add_co_u32_e32 v8, vcc, v8, v12
	v_mul_hi_u32 v10, v5, v13
	s_nop 0
	v_addc_co_u32_e32 v8, vcc, v9, v11, vcc
	v_mov_b32_e32 v9, v4
	s_nop 0
	v_addc_co_u32_e32 v11, vcc, 0, v10, vcc
	v_mul_lo_u32 v10, v5, v13
	v_lshl_add_u64 v[8:9], v[8:9], 0, v[10:11]
	v_add_co_u32_e32 v1, vcc, v1, v8
	v_mul_lo_u32 v10, s2, v1
	s_nop 0
	v_addc_co_u32_e32 v5, vcc, v5, v9, vcc
	v_mul_lo_u32 v8, s2, v5
	v_mul_hi_u32 v9, s2, v1
	v_add_u32_e32 v8, v9, v8
	v_mul_lo_u32 v9, s3, v1
	v_add_u32_e32 v12, v8, v9
	v_mul_hi_u32 v14, v5, v10
	v_mul_lo_u32 v15, v5, v10
	v_mul_hi_u32 v9, v1, v12
	v_mul_lo_u32 v8, v1, v12
	v_mul_hi_u32 v10, v1, v10
	v_mov_b32_e32 v11, v4
	v_lshl_add_u64 v[8:9], v[10:11], 0, v[8:9]
	v_add_co_u32_e32 v8, vcc, v8, v15
	v_mul_hi_u32 v13, v5, v12
	s_nop 0
	v_addc_co_u32_e32 v8, vcc, v9, v14, vcc
	v_mul_lo_u32 v10, v5, v12
	s_nop 0
	v_addc_co_u32_e32 v11, vcc, 0, v13, vcc
	v_mov_b32_e32 v9, v4
	v_lshl_add_u64 v[8:9], v[8:9], 0, v[10:11]
	v_add_co_u32_e32 v1, vcc, v1, v8
	v_mul_hi_u32 v10, v6, v1
	s_nop 0
	v_addc_co_u32_e32 v5, vcc, v5, v9, vcc
	v_mad_u64_u32 v[8:9], s[2:3], v6, v5, 0
	v_mov_b32_e32 v11, v4
	v_lshl_add_u64 v[8:9], v[10:11], 0, v[8:9]
	v_mad_u64_u32 v[12:13], s[2:3], v7, v1, 0
	v_add_co_u32_e32 v1, vcc, v8, v12
	v_mad_u64_u32 v[10:11], s[2:3], v7, v5, 0
	s_nop 0
	v_addc_co_u32_e32 v8, vcc, v9, v13, vcc
	v_mov_b32_e32 v9, v4
	s_nop 0
	v_addc_co_u32_e32 v11, vcc, 0, v11, vcc
	v_lshl_add_u64 v[8:9], v[8:9], 0, v[10:11]
	v_mul_lo_u32 v1, s25, v8
	v_mul_lo_u32 v5, s24, v9
	v_mad_u64_u32 v[10:11], s[2:3], s24, v8, 0
	v_add3_u32 v1, v11, v5, v1
	v_sub_u32_e32 v5, v7, v1
	v_mov_b32_e32 v11, s25
	v_sub_co_u32_e32 v14, vcc, v6, v10
	v_lshl_add_u64 v[12:13], v[8:9], 0, 1
	s_nop 0
	v_subb_co_u32_e64 v5, s[2:3], v5, v11, vcc
	v_subrev_co_u32_e64 v10, s[2:3], s24, v14
	v_subb_co_u32_e32 v1, vcc, v7, v1, vcc
	s_nop 0
	v_subbrev_co_u32_e64 v5, s[2:3], 0, v5, s[2:3]
	v_cmp_le_u32_e64 s[2:3], s25, v5
	v_cmp_le_u32_e32 vcc, s25, v1
	s_nop 0
	v_cndmask_b32_e64 v11, 0, -1, s[2:3]
	v_cmp_le_u32_e64 s[2:3], s24, v10
	s_nop 1
	v_cndmask_b32_e64 v10, 0, -1, s[2:3]
	v_cmp_eq_u32_e64 s[2:3], s25, v5
	s_nop 1
	v_cndmask_b32_e64 v5, v11, v10, s[2:3]
	v_lshl_add_u64 v[10:11], v[8:9], 0, 2
	v_cmp_ne_u32_e64 s[2:3], 0, v5
	s_nop 1
	v_cndmask_b32_e64 v5, v13, v11, s[2:3]
	v_cndmask_b32_e64 v11, 0, -1, vcc
	v_cmp_le_u32_e32 vcc, s24, v14
	s_nop 1
	v_cndmask_b32_e64 v13, 0, -1, vcc
	v_cmp_eq_u32_e32 vcc, s25, v1
	s_nop 1
	v_cndmask_b32_e32 v1, v11, v13, vcc
	v_cmp_ne_u32_e32 vcc, 0, v1
	v_cndmask_b32_e64 v1, v12, v10, s[2:3]
	s_nop 0
	v_cndmask_b32_e32 v113, v9, v5, vcc
	v_cndmask_b32_e32 v112, v8, v1, vcc
.LBB0_4:                                ;   in Loop: Header=BB0_2 Depth=1
	s_andn2_saveexec_b64 s[2:3], s[26:27]
	s_cbranch_execz .LBB0_6
; %bb.5:                                ;   in Loop: Header=BB0_2 Depth=1
	v_cvt_f32_u32_e32 v1, s24
	s_sub_i32 s26, 0, s24
	v_mov_b32_e32 v113, v4
	v_rcp_iflag_f32_e32 v1, v1
	s_nop 0
	v_mul_f32_e32 v1, 0x4f7ffffe, v1
	v_cvt_u32_f32_e32 v1, v1
	v_mul_lo_u32 v5, s26, v1
	v_mul_hi_u32 v5, v1, v5
	v_add_u32_e32 v1, v1, v5
	v_mul_hi_u32 v1, v6, v1
	v_mul_lo_u32 v5, v1, s24
	v_sub_u32_e32 v5, v6, v5
	v_add_u32_e32 v8, 1, v1
	v_subrev_u32_e32 v9, s24, v5
	v_cmp_le_u32_e32 vcc, s24, v5
	s_nop 1
	v_cndmask_b32_e32 v5, v5, v9, vcc
	v_cndmask_b32_e32 v1, v1, v8, vcc
	v_add_u32_e32 v8, 1, v1
	v_cmp_le_u32_e32 vcc, s24, v5
	s_nop 1
	v_cndmask_b32_e32 v112, v1, v8, vcc
.LBB0_6:                                ;   in Loop: Header=BB0_2 Depth=1
	s_or_b64 exec, exec, s[2:3]
	v_mad_u64_u32 v[8:9], s[2:3], v112, s24, 0
	s_load_dwordx2 s[2:3], s[18:19], 0x0
	v_mul_lo_u32 v1, v113, s24
	v_mul_lo_u32 v5, v112, s25
	s_load_dwordx2 s[24:25], s[16:17], 0x0
	s_add_u32 s22, s22, 1
	v_add3_u32 v1, v9, v5, v1
	v_sub_co_u32_e32 v5, vcc, v6, v8
	s_addc_u32 s23, s23, 0
	s_nop 0
	v_subb_co_u32_e32 v1, vcc, v7, v1, vcc
	s_add_u32 s16, s16, 8
	s_waitcnt lgkmcnt(0)
	v_mul_lo_u32 v6, s2, v1
	v_mul_lo_u32 v7, s3, v5
	v_mad_u64_u32 v[2:3], s[2:3], s2, v5, v[2:3]
	s_addc_u32 s17, s17, 0
	v_add3_u32 v3, v7, v3, v6
	v_mul_lo_u32 v1, s24, v1
	v_mul_lo_u32 v6, s25, v5
	v_mad_u64_u32 v[108:109], s[2:3], s24, v5, v[108:109]
	s_add_u32 s18, s18, 8
	v_add3_u32 v109, v6, v109, v1
	s_addc_u32 s19, s19, 0
	v_mov_b64_e32 v[6:7], s[10:11]
	s_add_u32 s20, s20, 8
	v_cmp_ge_u64_e32 vcc, s[22:23], v[6:7]
	s_addc_u32 s21, s21, 0
	s_cbranch_vccnz .LBB0_9
; %bb.7:                                ;   in Loop: Header=BB0_2 Depth=1
	v_mov_b64_e32 v[6:7], v[112:113]
	s_branch .LBB0_2
.LBB0_8:
	v_mov_b64_e32 v[108:109], v[2:3]
	v_mov_b64_e32 v[112:113], v[6:7]
.LBB0_9:
	s_load_dwordx2 s[18:19], s[0:1], 0x28
	s_lshl_b64 s[16:17], s[10:11], 3
	s_add_u32 s2, s14, s16
	s_addc_u32 s3, s15, s17
                                        ; implicit-def: $vgpr110
	s_waitcnt lgkmcnt(0)
	v_cmp_gt_u64_e64 s[0:1], s[18:19], v[112:113]
	v_cmp_le_u64_e32 vcc, s[18:19], v[112:113]
	s_and_saveexec_b64 s[10:11], vcc
	s_xor_b64 s[10:11], exec, s[10:11]
; %bb.10:
	s_mov_b32 s14, 0x4104105
	v_mul_hi_u32 v1, v0, s14
	v_mul_u32_u24_e32 v1, 63, v1
	v_sub_u32_e32 v110, v0, v1
                                        ; implicit-def: $vgpr0
                                        ; implicit-def: $vgpr2_vgpr3
; %bb.11:
	s_or_saveexec_b64 s[10:11], s[10:11]
	s_load_dwordx2 s[2:3], s[2:3], 0x0
	s_xor_b64 exec, exec, s[10:11]
	s_cbranch_execz .LBB0_15
; %bb.12:
	s_add_u32 s12, s12, s16
	s_addc_u32 s13, s13, s17
	s_load_dwordx2 s[12:13], s[12:13], 0x0
	s_mov_b32 s14, 0x4104105
	s_waitcnt lgkmcnt(0)
	v_mul_lo_u32 v1, s13, v112
	v_mul_lo_u32 v6, s12, v113
	v_mad_u64_u32 v[4:5], s[12:13], s12, v112, 0
	v_add3_u32 v5, v5, v6, v1
	v_mul_hi_u32 v1, v0, s14
	v_mul_u32_u24_e32 v1, 63, v1
	v_sub_u32_e32 v110, v0, v1
	v_lshl_add_u64 v[0:1], v[4:5], 4, s[4:5]
	v_lshl_add_u64 v[2:3], v[2:3], 4, v[0:1]
	v_lshlrev_b32_e32 v0, 4, v110
	v_mov_b32_e32 v1, 0
	v_lshl_add_u64 v[68:69], v[2:3], 0, v[0:1]
	s_movk_i32 s4, 0x1000
	v_add_co_u32_e32 v52, vcc, s4, v68
	s_movk_i32 s4, 0x2000
	s_nop 0
	v_addc_co_u32_e32 v53, vcc, 0, v69, vcc
	v_add_co_u32_e32 v70, vcc, s4, v68
	s_movk_i32 s5, 0x3000
	s_nop 0
	v_addc_co_u32_e32 v71, vcc, 0, v69, vcc
	v_add_co_u32_e32 v84, vcc, s5, v68
	global_load_dwordx4 v[4:7], v[68:69], off
	global_load_dwordx4 v[8:11], v[68:69], off offset:1008
	global_load_dwordx4 v[12:15], v[68:69], off offset:2016
	;; [unrolled: 1-line block ×3, first 2 shown]
	v_addc_co_u32_e32 v85, vcc, 0, v69, vcc
	v_add_co_u32_e32 v86, vcc, 0x4000, v68
	global_load_dwordx4 v[20:23], v[68:69], off offset:4032
	global_load_dwordx4 v[24:27], v[52:53], off offset:944
	;; [unrolled: 1-line block ×8, first 2 shown]
	s_nop 0
	global_load_dwordx4 v[52:55], v[70:71], off offset:3904
	global_load_dwordx4 v[56:59], v[84:85], off offset:816
	;; [unrolled: 1-line block ×4, first 2 shown]
	v_addc_co_u32_e32 v87, vcc, 0, v69, vcc
	global_load_dwordx4 v[68:71], v[84:85], off offset:3840
	global_load_dwordx4 v[72:75], v[86:87], off offset:752
	;; [unrolled: 1-line block ×4, first 2 shown]
	v_add_u32_e32 v0, 0, v0
	v_cmp_eq_u32_e32 vcc, 62, v110
	s_waitcnt vmcnt(19)
	ds_write_b128 v0, v[4:7]
	s_waitcnt vmcnt(18)
	ds_write_b128 v0, v[8:11] offset:1008
	s_waitcnt vmcnt(17)
	ds_write_b128 v0, v[12:15] offset:2016
	s_waitcnt vmcnt(16)
	ds_write_b128 v0, v[16:19] offset:3024
	s_waitcnt vmcnt(15)
	ds_write_b128 v0, v[20:23] offset:4032
	s_waitcnt vmcnt(14)
	ds_write_b128 v0, v[24:27] offset:5040
	s_waitcnt vmcnt(13)
	ds_write_b128 v0, v[28:31] offset:6048
	s_waitcnt vmcnt(12)
	ds_write_b128 v0, v[32:35] offset:7056
	s_waitcnt vmcnt(11)
	ds_write_b128 v0, v[36:39] offset:8064
	s_waitcnt vmcnt(10)
	ds_write_b128 v0, v[40:43] offset:9072
	s_waitcnt vmcnt(9)
	ds_write_b128 v0, v[44:47] offset:10080
	s_waitcnt vmcnt(8)
	ds_write_b128 v0, v[48:51] offset:11088
	s_waitcnt vmcnt(7)
	ds_write_b128 v0, v[52:55] offset:12096
	s_waitcnt vmcnt(6)
	ds_write_b128 v0, v[56:59] offset:13104
	s_waitcnt vmcnt(5)
	ds_write_b128 v0, v[60:63] offset:14112
	s_waitcnt vmcnt(4)
	ds_write_b128 v0, v[64:67] offset:15120
	s_waitcnt vmcnt(3)
	ds_write_b128 v0, v[68:71] offset:16128
	s_waitcnt vmcnt(2)
	ds_write_b128 v0, v[72:75] offset:17136
	s_waitcnt vmcnt(1)
	ds_write_b128 v0, v[76:79] offset:18144
	s_waitcnt vmcnt(0)
	ds_write_b128 v0, v[80:83] offset:19152
	s_and_saveexec_b64 s[4:5], vcc
	s_cbranch_execz .LBB0_14
; %bb.13:
	v_add_co_u32_e32 v2, vcc, 0x4000, v2
	v_mov_b32_e32 v110, 62
	s_nop 0
	v_addc_co_u32_e32 v3, vcc, 0, v3, vcc
	global_load_dwordx4 v[2:5], v[2:3], off offset:3776
	s_waitcnt vmcnt(0)
	ds_write_b128 v1, v[2:5] offset:20160
.LBB0_14:
	s_or_b64 exec, exec, s[4:5]
.LBB0_15:
	s_or_b64 exec, exec, s[10:11]
	v_lshlrev_b32_e32 v0, 4, v110
	v_add_u32_e32 v132, 0, v0
	s_waitcnt lgkmcnt(0)
	; wave barrier
	s_waitcnt lgkmcnt(0)
	v_sub_u32_e32 v22, 0, v0
	ds_read_b64 v[2:3], v132
	ds_read_b64 v[4:5], v22 offset:20160
	s_add_u32 s4, s8, 0x4ea0
	s_addc_u32 s5, s9, 0
	v_cmp_ne_u32_e32 vcc, 0, v110
                                        ; implicit-def: $vgpr0_vgpr1
	s_waitcnt lgkmcnt(0)
	v_add_f64 v[12:13], v[2:3], v[4:5]
	v_add_f64 v[14:15], v[2:3], -v[4:5]
	s_and_saveexec_b64 s[10:11], vcc
	s_xor_b64 s[10:11], exec, s[10:11]
	s_cbranch_execz .LBB0_17
; %bb.16:
	v_mov_b32_e32 v111, 0
	v_lshl_add_u64 v[0:1], v[110:111], 4, s[4:5]
	global_load_dwordx4 v[6:9], v[0:1], off
	ds_read_b64 v[0:1], v22 offset:20168
	ds_read_b64 v[10:11], v132 offset:8
	v_add_f64 v[12:13], v[2:3], v[4:5]
	v_add_f64 v[4:5], v[2:3], -v[4:5]
	s_waitcnt lgkmcnt(0)
	v_add_f64 v[16:17], v[0:1], v[10:11]
	v_add_f64 v[2:3], v[10:11], -v[0:1]
	s_waitcnt vmcnt(0)
	v_fma_f64 v[14:15], v[16:17], v[8:9], v[2:3]
	v_fma_f64 v[0:1], -v[4:5], v[8:9], v[12:13]
	v_fma_f64 v[2:3], v[16:17], v[8:9], -v[2:3]
	v_fma_f64 v[10:11], v[4:5], v[8:9], v[12:13]
	v_fmac_f64_e32 v[0:1], v[16:17], v[6:7]
	v_fmac_f64_e32 v[2:3], v[4:5], v[6:7]
	v_fma_f64 v[12:13], -v[16:17], v[6:7], v[10:11]
	v_fmac_f64_e32 v[14:15], v[4:5], v[6:7]
	ds_write_b128 v22, v[0:3] offset:20160
	v_mov_b64_e32 v[0:1], v[110:111]
.LBB0_17:
	s_andn2_saveexec_b64 s[10:11], s[10:11]
	s_cbranch_execz .LBB0_19
; %bb.18:
	v_mov_b32_e32 v4, 0
	ds_read_b128 v[0:3], v4 offset:10080
	s_waitcnt lgkmcnt(0)
	v_add_f64 v[0:1], v[0:1], v[0:1]
	v_mul_f64 v[2:3], v[2:3], -2.0
	ds_write_b128 v4, v[0:3] offset:10080
	v_mov_b64_e32 v[0:1], 0
.LBB0_19:
	s_or_b64 exec, exec, s[10:11]
	v_lshl_add_u64 v[20:21], v[0:1], 4, s[4:5]
	global_load_dwordx4 v[4:7], v[20:21], off offset:1008
	global_load_dwordx4 v[16:19], v[20:21], off offset:2016
	global_load_dwordx4 v[8:11], v[20:21], off offset:3024
	v_add_u32_e32 v84, 0xfc, v110
	v_mov_b32_e32 v85, 0
	v_lshl_add_u64 v[0:1], v[84:85], 4, s[4:5]
	global_load_dwordx4 v[0:3], v[0:1], off
	v_add_u32_e32 v86, 0x13b, v110
	v_mov_b32_e32 v87, v85
	ds_write_b128 v132, v[12:15]
	v_lshl_add_u64 v[12:13], v[86:87], 4, s[4:5]
	ds_read_b128 v[24:27], v132 offset:1008
	ds_read_b128 v[28:31], v22 offset:19152
	global_load_dwordx4 v[12:15], v[12:13], off
	s_movk_i32 s10, 0x1000
	v_lshl_add_u32 v114, v84, 4, 0
	s_movk_i32 s4, 0x2000
	s_waitcnt lgkmcnt(0)
	v_add_f64 v[32:33], v[24:25], v[28:29]
	v_add_f64 v[34:35], v[30:31], v[26:27]
	v_add_f64 v[36:37], v[24:25], -v[28:29]
	v_add_f64 v[24:25], v[26:27], -v[30:31]
	v_lshl_add_u32 v85, v86, 4, 0
	v_lshl_add_u32 v80, v110, 4, v132
	v_add_u32_e32 v115, 63, v110
	v_add_u32_e32 v111, 0x7e, v110
	;; [unrolled: 1-line block ×4, first 2 shown]
	v_and_b32_e32 v88, 1, v86
	v_and_b32_e32 v90, 1, v110
	;; [unrolled: 1-line block ×3, first 2 shown]
	v_lshlrev_b32_e32 v93, 1, v110
	s_movk_i32 s5, 0x2fc
	s_waitcnt vmcnt(4)
	v_fma_f64 v[38:39], v[36:37], v[6:7], v[32:33]
	v_fma_f64 v[26:27], v[34:35], v[6:7], v[24:25]
	v_fma_f64 v[28:29], -v[36:37], v[6:7], v[32:33]
	v_fma_f64 v[30:31], v[34:35], v[6:7], -v[24:25]
	v_fma_f64 v[24:25], -v[34:35], v[4:5], v[38:39]
	v_fmac_f64_e32 v[26:27], v[36:37], v[4:5]
	v_add_co_u32_e32 v32, vcc, s10, v20
	v_fmac_f64_e32 v[28:29], v[34:35], v[4:5]
	v_fmac_f64_e32 v[30:31], v[36:37], v[4:5]
	ds_write_b128 v132, v[24:27] offset:1008
	ds_write_b128 v22, v[28:31] offset:19152
	v_addc_co_u32_e32 v33, vcc, 0, v21, vcc
	ds_read_b128 v[24:27], v132 offset:2016
	ds_read_b128 v[28:31], v22 offset:18144
	global_load_dwordx4 v[4:7], v[32:33], off offset:1952
	s_waitcnt lgkmcnt(0)
	v_add_f64 v[34:35], v[24:25], v[28:29]
	v_add_f64 v[36:37], v[30:31], v[26:27]
	v_add_f64 v[38:39], v[24:25], -v[28:29]
	v_add_f64 v[24:25], v[26:27], -v[30:31]
	s_waitcnt vmcnt(4)
	v_fma_f64 v[40:41], v[38:39], v[18:19], v[34:35]
	v_fma_f64 v[26:27], v[36:37], v[18:19], v[24:25]
	v_fma_f64 v[28:29], -v[38:39], v[18:19], v[34:35]
	v_fma_f64 v[30:31], v[36:37], v[18:19], -v[24:25]
	v_fma_f64 v[24:25], -v[36:37], v[16:17], v[40:41]
	v_fmac_f64_e32 v[26:27], v[38:39], v[16:17]
	v_fmac_f64_e32 v[28:29], v[36:37], v[16:17]
	v_fmac_f64_e32 v[30:31], v[38:39], v[16:17]
	ds_write_b128 v132, v[24:27] offset:2016
	ds_write_b128 v22, v[28:31] offset:18144
	ds_read_b128 v[16:19], v132 offset:3024
	ds_read_b128 v[24:27], v22 offset:17136
	global_load_dwordx4 v[28:31], v[32:33], off offset:2960
	s_waitcnt lgkmcnt(0)
	v_add_f64 v[34:35], v[16:17], v[24:25]
	v_add_f64 v[36:37], v[26:27], v[18:19]
	v_add_f64 v[38:39], v[16:17], -v[24:25]
	v_add_f64 v[16:17], v[18:19], -v[26:27]
	s_waitcnt vmcnt(4)
	v_fma_f64 v[40:41], v[38:39], v[10:11], v[34:35]
	v_fma_f64 v[18:19], v[36:37], v[10:11], v[16:17]
	v_fma_f64 v[24:25], -v[38:39], v[10:11], v[34:35]
	v_fma_f64 v[26:27], v[36:37], v[10:11], -v[16:17]
	v_fma_f64 v[16:17], -v[36:37], v[8:9], v[40:41]
	v_fmac_f64_e32 v[18:19], v[38:39], v[8:9]
	v_fmac_f64_e32 v[24:25], v[36:37], v[8:9]
	;; [unrolled: 1-line block ×3, first 2 shown]
	ds_write_b128 v132, v[16:19] offset:3024
	ds_write_b128 v22, v[24:27] offset:17136
	ds_read_b128 v[8:11], v114
	ds_read_b128 v[16:19], v22 offset:16128
	global_load_dwordx4 v[24:27], v[32:33], off offset:3968
	s_waitcnt lgkmcnt(0)
	v_add_f64 v[32:33], v[8:9], v[16:17]
	v_add_f64 v[34:35], v[18:19], v[10:11]
	v_add_f64 v[36:37], v[8:9], -v[16:17]
	v_add_f64 v[8:9], v[10:11], -v[18:19]
	s_waitcnt vmcnt(4)
	v_fma_f64 v[38:39], v[36:37], v[2:3], v[32:33]
	v_fma_f64 v[10:11], v[34:35], v[2:3], v[8:9]
	v_fma_f64 v[16:17], -v[36:37], v[2:3], v[32:33]
	v_fma_f64 v[18:19], v[34:35], v[2:3], -v[8:9]
	v_fma_f64 v[8:9], -v[34:35], v[0:1], v[38:39]
	v_fmac_f64_e32 v[10:11], v[36:37], v[0:1]
	v_fmac_f64_e32 v[16:17], v[34:35], v[0:1]
	;; [unrolled: 1-line block ×3, first 2 shown]
	ds_write_b128 v114, v[8:11]
	ds_write_b128 v22, v[16:19] offset:16128
	v_add_co_u32_e32 v16, vcc, s4, v20
	ds_read_b128 v[0:3], v85
	ds_read_b128 v[8:11], v22 offset:15120
	v_addc_co_u32_e32 v17, vcc, 0, v21, vcc
	global_load_dwordx4 v[16:19], v[16:17], off offset:880
	s_movk_i32 s4, 0x7c
	s_waitcnt lgkmcnt(0)
	v_add_f64 v[20:21], v[0:1], v[8:9]
	v_add_f64 v[32:33], v[10:11], v[2:3]
	v_add_f64 v[34:35], v[0:1], -v[8:9]
	v_add_f64 v[0:1], v[2:3], -v[10:11]
	s_waitcnt vmcnt(4)
	v_fma_f64 v[36:37], v[34:35], v[14:15], v[20:21]
	v_fma_f64 v[2:3], v[32:33], v[14:15], v[0:1]
	v_fma_f64 v[8:9], -v[34:35], v[14:15], v[20:21]
	v_fma_f64 v[10:11], v[32:33], v[14:15], -v[0:1]
	v_fma_f64 v[0:1], -v[32:33], v[12:13], v[36:37]
	v_fmac_f64_e32 v[2:3], v[34:35], v[12:13]
	v_fmac_f64_e32 v[8:9], v[32:33], v[12:13]
	;; [unrolled: 1-line block ×3, first 2 shown]
	ds_write_b128 v85, v[0:3]
	ds_write_b128 v22, v[8:11] offset:15120
	ds_read_b128 v[0:3], v132 offset:6048
	ds_read_b128 v[8:11], v22 offset:14112
	v_and_or_b32 v93, v93, s4, v90
	v_lshl_add_u32 v93, v93, 4, 0
	s_movk_i32 s4, 0xfc
	v_cmp_gt_u32_e32 vcc, 42, v110
	s_waitcnt lgkmcnt(0)
	v_add_f64 v[12:13], v[0:1], v[8:9]
	v_add_f64 v[14:15], v[10:11], v[2:3]
	v_add_f64 v[20:21], v[0:1], -v[8:9]
	v_add_f64 v[0:1], v[2:3], -v[10:11]
	s_waitcnt vmcnt(3)
	v_fma_f64 v[32:33], v[20:21], v[6:7], v[12:13]
	v_fma_f64 v[2:3], v[14:15], v[6:7], v[0:1]
	v_fma_f64 v[8:9], -v[20:21], v[6:7], v[12:13]
	v_fma_f64 v[10:11], v[14:15], v[6:7], -v[0:1]
	v_fma_f64 v[0:1], -v[14:15], v[4:5], v[32:33]
	v_fmac_f64_e32 v[2:3], v[20:21], v[4:5]
	v_fmac_f64_e32 v[8:9], v[14:15], v[4:5]
	;; [unrolled: 1-line block ×3, first 2 shown]
	ds_write_b128 v132, v[0:3] offset:6048
	ds_write_b128 v22, v[8:11] offset:14112
	ds_read_b128 v[0:3], v132 offset:7056
	ds_read_b128 v[4:7], v22 offset:13104
	s_waitcnt lgkmcnt(0)
	v_add_f64 v[8:9], v[0:1], v[4:5]
	v_add_f64 v[10:11], v[6:7], v[2:3]
	v_add_f64 v[12:13], v[0:1], -v[4:5]
	v_add_f64 v[6:7], v[2:3], -v[6:7]
	s_waitcnt vmcnt(2)
	v_fma_f64 v[0:1], v[12:13], v[30:31], v[8:9]
	v_fma_f64 v[2:3], v[10:11], v[30:31], v[6:7]
	v_fma_f64 v[4:5], -v[12:13], v[30:31], v[8:9]
	v_fma_f64 v[6:7], v[10:11], v[30:31], -v[6:7]
	v_fma_f64 v[0:1], -v[10:11], v[28:29], v[0:1]
	v_fmac_f64_e32 v[2:3], v[12:13], v[28:29]
	v_fmac_f64_e32 v[4:5], v[10:11], v[28:29]
	;; [unrolled: 1-line block ×3, first 2 shown]
	ds_write_b128 v132, v[0:3] offset:7056
	ds_write_b128 v22, v[4:7] offset:13104
	ds_read_b128 v[0:3], v132 offset:8064
	ds_read_b128 v[4:7], v22 offset:12096
	s_waitcnt lgkmcnt(0)
	v_add_f64 v[8:9], v[0:1], v[4:5]
	v_add_f64 v[10:11], v[6:7], v[2:3]
	v_add_f64 v[4:5], v[0:1], -v[4:5]
	v_add_f64 v[6:7], v[2:3], -v[6:7]
	s_waitcnt vmcnt(1)
	v_fma_f64 v[0:1], v[4:5], v[26:27], v[8:9]
	v_fma_f64 v[2:3], v[10:11], v[26:27], v[6:7]
	v_fma_f64 v[0:1], -v[10:11], v[24:25], v[0:1]
	v_fmac_f64_e32 v[2:3], v[4:5], v[24:25]
	ds_write_b128 v132, v[0:3] offset:8064
	v_fma_f64 v[0:1], -v[4:5], v[26:27], v[8:9]
	v_fma_f64 v[2:3], v[10:11], v[26:27], -v[6:7]
	v_fmac_f64_e32 v[0:1], v[10:11], v[24:25]
	v_fmac_f64_e32 v[2:3], v[4:5], v[24:25]
	ds_write_b128 v22, v[0:3] offset:12096
	ds_read_b128 v[0:3], v132 offset:9072
	ds_read_b128 v[4:7], v22 offset:11088
	s_waitcnt lgkmcnt(0)
	v_add_f64 v[8:9], v[0:1], v[4:5]
	v_add_f64 v[10:11], v[6:7], v[2:3]
	v_add_f64 v[4:5], v[0:1], -v[4:5]
	v_add_f64 v[6:7], v[2:3], -v[6:7]
	s_waitcnt vmcnt(0)
	v_fma_f64 v[0:1], v[4:5], v[18:19], v[8:9]
	v_fma_f64 v[2:3], v[10:11], v[18:19], v[6:7]
	v_fma_f64 v[0:1], -v[10:11], v[16:17], v[0:1]
	v_fmac_f64_e32 v[2:3], v[4:5], v[16:17]
	ds_write_b128 v132, v[0:3] offset:9072
	v_fma_f64 v[0:1], -v[4:5], v[18:19], v[8:9]
	v_fma_f64 v[2:3], v[10:11], v[18:19], -v[6:7]
	v_fmac_f64_e32 v[0:1], v[10:11], v[16:17]
	v_fmac_f64_e32 v[2:3], v[4:5], v[16:17]
	ds_write_b128 v22, v[0:3] offset:11088
	s_waitcnt lgkmcnt(0)
	; wave barrier
	s_waitcnt lgkmcnt(0)
	s_waitcnt lgkmcnt(0)
	; wave barrier
	s_waitcnt lgkmcnt(0)
	ds_read_b128 v[32:35], v132
	ds_read_b128 v[0:3], v132 offset:1008
	ds_read_b128 v[36:39], v132 offset:10080
	;; [unrolled: 1-line block ×9, first 2 shown]
	s_waitcnt lgkmcnt(7)
	v_add_f64 v[36:37], v[32:33], -v[36:37]
	v_add_f64 v[38:39], v[34:35], -v[38:39]
	v_fma_f64 v[32:33], v[32:33], 2.0, -v[36:37]
	v_fma_f64 v[34:35], v[34:35], 2.0, -v[38:39]
	s_waitcnt lgkmcnt(6)
	v_add_f64 v[20:21], v[0:1], -v[20:21]
	v_add_f64 v[22:23], v[2:3], -v[22:23]
	ds_read_b128 v[40:43], v132 offset:14112
	ds_read_b128 v[44:47], v132 offset:15120
	;; [unrolled: 1-line block ×10, first 2 shown]
	s_waitcnt lgkmcnt(0)
	; wave barrier
	s_waitcnt lgkmcnt(0)
	ds_write_b128 v80, v[32:35]
	ds_write_b128 v80, v[36:39] offset:16
	v_fma_f64 v[0:1], v[0:1], 2.0, -v[20:21]
	v_fma_f64 v[2:3], v[2:3], 2.0, -v[22:23]
	v_lshl_add_u32 v32, v115, 5, 0
	ds_write_b128 v32, v[0:3]
	ds_write_b128 v32, v[20:23] offset:16
	v_add_f64 v[0:1], v[4:5], -v[28:29]
	v_add_f64 v[2:3], v[6:7], -v[30:31]
	v_fma_f64 v[4:5], v[4:5], 2.0, -v[0:1]
	v_fma_f64 v[6:7], v[6:7], 2.0, -v[2:3]
	v_lshl_add_u32 v20, v111, 5, 0
	ds_write_b128 v20, v[4:7]
	ds_write_b128 v20, v[0:3] offset:16
	v_add_f64 v[0:1], v[8:9], -v[24:25]
	v_add_f64 v[2:3], v[10:11], -v[26:27]
	;; [unrolled: 7-line block ×3, first 2 shown]
	v_lshl_add_u32 v10, v84, 5, 0
	v_fma_f64 v[4:5], v[16:17], 2.0, -v[0:1]
	v_fma_f64 v[6:7], v[18:19], 2.0, -v[2:3]
	ds_write_b128 v10, v[0:3] offset:16
	v_add_f64 v[0:1], v[12:13], -v[44:45]
	v_add_f64 v[2:3], v[14:15], -v[46:47]
	ds_write_b128 v10, v[4:7]
	v_fma_f64 v[4:5], v[12:13], 2.0, -v[0:1]
	v_fma_f64 v[6:7], v[14:15], 2.0, -v[2:3]
	v_add_f64 v[12:13], v[48:49], -v[56:57]
	v_add_f64 v[14:15], v[50:51], -v[58:59]
	v_lshl_add_u32 v11, v86, 5, 0
	v_add_u32_e32 v8, 0x1b9, v110
	v_fma_f64 v[16:17], v[48:49], 2.0, -v[12:13]
	v_fma_f64 v[18:19], v[50:51], 2.0, -v[14:15]
	v_add_f64 v[20:21], v[52:53], -v[60:61]
	v_add_f64 v[22:23], v[54:55], -v[62:63]
	ds_write_b128 v11, v[4:7]
	ds_write_b128 v11, v[0:3] offset:16
	v_lshl_add_u32 v0, v87, 5, 0
	v_add_u32_e32 v9, 0x1f8, v110
	v_fma_f64 v[24:25], v[52:53], 2.0, -v[20:21]
	v_fma_f64 v[26:27], v[54:55], 2.0, -v[22:23]
	v_add_f64 v[28:29], v[64:65], -v[72:73]
	v_add_f64 v[30:31], v[66:67], -v[74:75]
	ds_write_b128 v0, v[16:19]
	ds_write_b128 v0, v[12:15] offset:16
	;; [unrolled: 8-line block ×3, first 2 shown]
	v_lshl_add_u32 v0, v9, 5, 0
	v_fma_f64 v[40:41], v[68:69], 2.0, -v[36:37]
	v_fma_f64 v[42:43], v[70:71], 2.0, -v[38:39]
	ds_write_b128 v0, v[32:35]
	ds_write_b128 v0, v[28:31] offset:16
	v_lshl_add_u32 v0, v10, 5, 0
	v_and_b32_e32 v11, 1, v120
	ds_write_b128 v0, v[40:43]
	ds_write_b128 v0, v[36:39] offset:16
	v_lshlrev_b32_e32 v0, 4, v11
	s_waitcnt lgkmcnt(0)
	; wave barrier
	s_waitcnt lgkmcnt(0)
	global_load_dwordx4 v[0:3], v0, s[8:9]
	v_lshlrev_b32_e32 v4, 4, v88
	global_load_dwordx4 v[12:15], v4, s[8:9]
	v_and_b32_e32 v89, 1, v8
	v_lshlrev_b32_e32 v4, 4, v89
	global_load_dwordx4 v[16:19], v4, s[8:9]
	v_lshlrev_b32_e32 v4, 4, v90
	global_load_dwordx4 v[20:23], v4, s[8:9]
	v_and_b32_e32 v91, 1, v10
	v_lshlrev_b32_e32 v4, 4, v91
	global_load_dwordx2 v[48:49], v4, s[8:9] offset:8
	global_load_dwordx4 v[24:27], v4, s[8:9]
	v_lshlrev_b32_e32 v4, 4, v92
	global_load_dwordx2 v[50:51], v4, s[8:9]
	ds_read_b128 v[4:7], v132 offset:13104
	ds_read_b128 v[28:31], v132 offset:12096
	;; [unrolled: 1-line block ×5, first 2 shown]
	v_lshlrev_b32_e32 v8, 1, v8
	v_lshlrev_b32_e32 v9, 1, v9
	;; [unrolled: 1-line block ×3, first 2 shown]
	s_waitcnt vmcnt(6) lgkmcnt(4)
	v_mul_f64 v[44:45], v[6:7], v[2:3]
	v_mul_f64 v[58:59], v[4:5], v[2:3]
	v_fma_f64 v[56:57], v[4:5], v[0:1], -v[44:45]
	v_fmac_f64_e32 v[58:59], v[6:7], v[0:1]
	s_waitcnt vmcnt(5) lgkmcnt(1)
	v_mul_f64 v[0:1], v[38:39], v[14:15]
	v_mul_f64 v[6:7], v[36:37], v[14:15]
	v_fma_f64 v[4:5], v[36:37], v[12:13], -v[0:1]
	v_fmac_f64_e32 v[6:7], v[38:39], v[12:13]
	ds_read_b128 v[12:15], v132 offset:10080
	ds_read_b128 v[36:39], v132 offset:11088
	;; [unrolled: 1-line block ×3, first 2 shown]
	s_waitcnt vmcnt(4) lgkmcnt(3)
	v_mul_f64 v[0:1], v[42:43], v[18:19]
	v_mul_f64 v[2:3], v[40:41], v[18:19]
	v_fma_f64 v[0:1], v[40:41], v[16:17], -v[0:1]
	v_fmac_f64_e32 v[2:3], v[42:43], v[16:17]
	s_waitcnt vmcnt(3) lgkmcnt(2)
	v_mul_f64 v[16:17], v[14:15], v[22:23]
	v_fma_f64 v[40:41], v[12:13], v[20:21], -v[16:17]
	v_mul_f64 v[42:43], v[12:13], v[22:23]
	v_mul_f64 v[12:13], v[30:31], v[22:23]
	v_fma_f64 v[60:61], v[28:29], v[20:21], -v[12:13]
	v_mul_f64 v[12:13], v[34:35], v[22:23]
	v_fmac_f64_e32 v[42:43], v[14:15], v[20:21]
	v_fma_f64 v[64:65], v[32:33], v[20:21], -v[12:13]
	s_waitcnt lgkmcnt(0)
	v_mul_f64 v[16:17], v[46:47], v[22:23]
	ds_read_b128 v[12:15], v132 offset:18144
	v_fma_f64 v[68:69], v[44:45], v[20:21], -v[16:17]
	ds_read_b128 v[16:19], v132 offset:19152
	v_mul_f64 v[62:63], v[28:29], v[22:23]
	v_mul_f64 v[66:67], v[32:33], v[22:23]
	s_waitcnt lgkmcnt(1)
	v_mul_f64 v[28:29], v[14:15], v[22:23]
	v_fma_f64 v[72:73], v[12:13], v[20:21], -v[28:29]
	v_mul_f64 v[74:75], v[12:13], v[22:23]
	s_waitcnt vmcnt(2) lgkmcnt(0)
	v_mul_f64 v[12:13], v[18:19], v[48:49]
	v_fmac_f64_e32 v[74:75], v[14:15], v[20:21]
	s_waitcnt vmcnt(1)
	v_fma_f64 v[76:77], v[16:17], v[24:25], -v[12:13]
	ds_read_b128 v[12:15], v132
	v_mul_f64 v[78:79], v[16:17], v[48:49]
	v_mul_f64 v[16:17], v[38:39], v[26:27]
	v_fmac_f64_e32 v[78:79], v[18:19], v[24:25]
	s_waitcnt vmcnt(0)
	v_fma_f64 v[82:83], v[36:37], v[50:51], -v[16:17]
	ds_read_b128 v[16:19], v132 offset:1008
	v_mul_f64 v[70:71], v[44:45], v[22:23]
	v_fmac_f64_e32 v[62:63], v[30:31], v[20:21]
	v_fmac_f64_e32 v[66:67], v[34:35], v[20:21]
	;; [unrolled: 1-line block ×3, first 2 shown]
	s_waitcnt lgkmcnt(1)
	v_add_f64 v[20:21], v[12:13], -v[40:41]
	v_add_f64 v[22:23], v[14:15], -v[42:43]
	v_mul_f64 v[80:81], v[36:37], v[26:27]
	v_fma_f64 v[12:13], v[12:13], 2.0, -v[20:21]
	v_fma_f64 v[14:15], v[14:15], 2.0, -v[22:23]
	v_fmac_f64_e32 v[80:81], v[38:39], v[50:51]
	ds_read_b128 v[24:27], v132 offset:2016
	ds_read_b128 v[28:31], v132 offset:3024
	ds_read_b128 v[32:35], v114
	ds_read_b128 v[36:39], v85
	ds_read_b128 v[40:43], v132 offset:6048
	ds_read_b128 v[44:47], v132 offset:7056
	;; [unrolled: 1-line block ×4, first 2 shown]
	s_waitcnt lgkmcnt(0)
	; wave barrier
	s_waitcnt lgkmcnt(0)
	ds_write_b128 v93, v[12:15]
	ds_write_b128 v93, v[20:23] offset:32
	v_lshlrev_b32_e32 v20, 1, v115
	v_add_f64 v[12:13], v[16:17], -v[82:83]
	v_add_f64 v[14:15], v[18:19], -v[80:81]
	v_and_or_b32 v20, v20, s4, v92
	v_fma_f64 v[16:17], v[16:17], 2.0, -v[12:13]
	v_fma_f64 v[18:19], v[18:19], 2.0, -v[14:15]
	v_lshl_add_u32 v20, v20, 4, 0
	ds_write_b128 v20, v[16:19]
	ds_write_b128 v20, v[12:15] offset:32
	s_movk_i32 s4, 0x1fc
	v_lshlrev_b32_e32 v20, 1, v111
	v_add_f64 v[12:13], v[24:25], -v[60:61]
	v_add_f64 v[14:15], v[26:27], -v[62:63]
	v_and_or_b32 v20, v20, s4, v90
	v_fma_f64 v[16:17], v[24:25], 2.0, -v[12:13]
	v_fma_f64 v[18:19], v[26:27], 2.0, -v[14:15]
	v_lshl_add_u32 v20, v20, 4, 0
	ds_write_b128 v20, v[16:19]
	ds_write_b128 v20, v[12:15] offset:32
	v_lshlrev_b32_e32 v20, 1, v120
	v_add_f64 v[12:13], v[28:29], -v[56:57]
	v_add_f64 v[14:15], v[30:31], -v[58:59]
	v_and_or_b32 v11, v20, s4, v11
	v_fma_f64 v[16:17], v[28:29], 2.0, -v[12:13]
	v_fma_f64 v[18:19], v[30:31], 2.0, -v[14:15]
	v_lshl_add_u32 v11, v11, 4, 0
	ds_write_b128 v11, v[16:19]
	ds_write_b128 v11, v[12:15] offset:32
	s_movk_i32 s4, 0x3fc
	v_lshlrev_b32_e32 v11, 1, v84
	v_add_f64 v[12:13], v[32:33], -v[64:65]
	v_add_f64 v[14:15], v[34:35], -v[66:67]
	v_and_or_b32 v11, v11, s4, v90
	v_fma_f64 v[16:17], v[32:33], 2.0, -v[12:13]
	v_fma_f64 v[18:19], v[34:35], 2.0, -v[14:15]
	v_lshl_add_u32 v11, v11, 4, 0
	ds_write_b128 v11, v[16:19]
	ds_write_b128 v11, v[12:15] offset:32
	v_lshlrev_b32_e32 v11, 1, v86
	v_add_f64 v[12:13], v[36:37], -v[4:5]
	v_add_f64 v[14:15], v[38:39], -v[6:7]
	v_and_or_b32 v11, v11, s5, v88
	v_fma_f64 v[16:17], v[36:37], 2.0, -v[12:13]
	v_fma_f64 v[18:19], v[38:39], 2.0, -v[14:15]
	v_lshl_add_u32 v11, v11, 4, 0
	ds_write_b128 v11, v[16:19]
	v_lshlrev_b32_e32 v16, 1, v87
	v_add_f64 v[20:21], v[40:41], -v[68:69]
	v_add_f64 v[22:23], v[42:43], -v[70:71]
	;; [unrolled: 1-line block ×4, first 2 shown]
	ds_write_b128 v11, v[12:15] offset:32
	v_and_or_b32 v11, v16, s4, v90
	v_and_or_b32 v8, v8, s4, v89
	v_fma_f64 v[24:25], v[40:41], 2.0, -v[20:21]
	v_fma_f64 v[26:27], v[42:43], 2.0, -v[22:23]
	;; [unrolled: 1-line block ×4, first 2 shown]
	v_lshl_add_u32 v11, v11, 4, 0
	v_lshl_add_u32 v8, v8, 4, 0
	s_movk_i32 s4, 0x7fc
	v_add_f64 v[36:37], v[48:49], -v[72:73]
	v_add_f64 v[38:39], v[50:51], -v[74:75]
	ds_write_b128 v11, v[24:27]
	ds_write_b128 v11, v[20:23] offset:32
	ds_write_b128 v8, v[32:35]
	ds_write_b128 v8, v[28:31] offset:32
	v_and_or_b32 v8, v9, s4, v90
	v_fma_f64 v[40:41], v[48:49], 2.0, -v[36:37]
	v_fma_f64 v[42:43], v[50:51], 2.0, -v[38:39]
	v_lshl_add_u32 v8, v8, 4, 0
	s_movk_i32 s4, 0x4fc
	v_add_f64 v[4:5], v[52:53], -v[76:77]
	v_add_f64 v[6:7], v[54:55], -v[78:79]
	ds_write_b128 v8, v[40:43]
	ds_write_b128 v8, v[36:39] offset:32
	v_and_or_b32 v8, v10, s4, v91
	v_fma_f64 v[0:1], v[52:53], 2.0, -v[4:5]
	v_fma_f64 v[2:3], v[54:55], 2.0, -v[6:7]
	v_lshl_add_u32 v8, v8, 4, 0
	ds_write_b128 v8, v[0:3]
	ds_write_b128 v8, v[4:7] offset:32
	s_waitcnt lgkmcnt(0)
	; wave barrier
	s_waitcnt lgkmcnt(0)
	ds_read_b128 v[28:31], v132
	ds_read_b128 v[24:27], v132 offset:1008
	ds_read_b128 v[36:39], v132 offset:6720
	;; [unrolled: 1-line block ×11, first 2 shown]
	ds_read_b128 v[12:15], v114
	ds_read_b128 v[8:11], v85
	ds_read_b128 v[60:63], v132 offset:10752
	ds_read_b128 v[52:55], v132 offset:11760
	;; [unrolled: 1-line block ×4, first 2 shown]
                                        ; implicit-def: $vgpr78_vgpr79
	s_and_saveexec_b64 s[4:5], vcc
	s_cbranch_execz .LBB0_21
; %bb.20:
	ds_read_b128 v[0:3], v132 offset:6048
	ds_read_b128 v[4:7], v132 offset:12768
	;; [unrolled: 1-line block ×3, first 2 shown]
.LBB0_21:
	s_or_b64 exec, exec, s[4:5]
	v_and_b32_e32 v88, 3, v115
	v_lshlrev_b32_e32 v89, 5, v88
	v_and_b32_e32 v121, 3, v120
	global_load_dwordx4 v[90:93], v89, s[8:9] offset:32
	global_load_dwordx4 v[94:97], v89, s[8:9] offset:48
	v_lshlrev_b32_e32 v89, 5, v121
	v_and_b32_e32 v133, 3, v110
	global_load_dwordx4 v[98:101], v89, s[8:9] offset:32
	global_load_dwordx4 v[102:105], v89, s[8:9] offset:48
	v_lshlrev_b32_e32 v89, 5, v133
	global_load_dwordx4 v[116:119], v89, s[8:9] offset:32
	global_load_dwordx4 v[122:125], v89, s[8:9] offset:48
	v_and_b32_e32 v158, 3, v86
	v_and_b32_e32 v89, 3, v87
	v_lshlrev_b32_e32 v106, 5, v158
	v_lshlrev_b32_e32 v107, 5, v89
	global_load_dwordx4 v[126:129], v106, s[8:9] offset:32
	global_load_dwordx4 v[134:137], v107, s[8:9] offset:32
	;; [unrolled: 1-line block ×5, first 2 shown]
	s_nop 0
	global_load_dwordx2 v[106:107], v107, s[8:9] offset:56
	v_and_b32_e32 v159, 3, v111
	v_lshlrev_b32_e32 v130, 5, v159
	global_load_dwordx2 v[130:131], v130, s[8:9] offset:32
	s_mov_b32 s4, 0xe8584caa
	s_mov_b32 s5, 0x3febb67a
	;; [unrolled: 1-line block ×4, first 2 shown]
	s_waitcnt lgkmcnt(0)
	; wave barrier
	s_waitcnt vmcnt(12) lgkmcnt(0)
	v_mul_f64 v[150:151], v[70:71], v[92:93]
	v_mul_f64 v[92:93], v[68:69], v[92:93]
	s_waitcnt vmcnt(11)
	v_mul_f64 v[152:153], v[66:67], v[96:97]
	v_mul_f64 v[96:97], v[64:65], v[96:97]
	v_fmac_f64_e32 v[92:93], v[70:71], v[90:91]
	s_waitcnt vmcnt(8)
	v_mul_f64 v[70:71], v[38:39], v[118:119]
	v_fmac_f64_e32 v[96:97], v[66:67], v[94:95]
	s_waitcnt vmcnt(7)
	v_mul_f64 v[66:67], v[34:35], v[124:125]
	v_mul_f64 v[154:155], v[82:83], v[100:101]
	;; [unrolled: 1-line block ×3, first 2 shown]
	v_fma_f64 v[68:69], v[68:69], v[90:91], -v[150:151]
	v_mul_f64 v[90:91], v[36:37], v[118:119]
	v_fma_f64 v[64:65], v[64:65], v[94:95], -v[152:153]
	v_mul_f64 v[94:95], v[32:33], v[124:125]
	v_mul_f64 v[152:153], v[58:59], v[124:125]
	;; [unrolled: 1-line block ×3, first 2 shown]
	v_fma_f64 v[70:71], v[36:37], v[116:117], -v[70:71]
	s_waitcnt vmcnt(2)
	v_mul_f64 v[36:37], v[6:7], v[146:147]
	v_mul_f64 v[146:147], v[4:5], v[146:147]
	v_fma_f64 v[32:33], v[32:33], v[122:123], -v[66:67]
	v_mul_f64 v[156:157], v[74:75], v[104:105]
	v_mul_f64 v[104:105], v[72:73], v[104:105]
	v_fma_f64 v[80:81], v[80:81], v[98:99], -v[154:155]
	v_fmac_f64_e32 v[100:101], v[82:83], v[98:99]
	v_mul_f64 v[82:83], v[54:55], v[128:129]
	v_mul_f64 v[98:99], v[52:53], v[128:129]
	v_fmac_f64_e32 v[90:91], v[38:39], v[116:117]
	s_waitcnt vmcnt(1)
	v_mul_f64 v[38:39], v[78:79], v[106:107]
	v_fmac_f64_e32 v[94:95], v[34:35], v[122:123]
	v_fma_f64 v[34:35], v[56:57], v[122:123], -v[152:153]
	v_fmac_f64_e32 v[124:125], v[58:59], v[122:123]
	v_fma_f64 v[122:123], v[4:5], v[134:135], -v[36:37]
	v_fmac_f64_e32 v[146:147], v[6:7], v[134:135]
	v_add_f64 v[4:5], v[28:29], v[70:71]
	v_add_f64 v[6:7], v[70:71], v[32:33]
	v_mul_f64 v[150:151], v[62:63], v[118:119]
	v_fma_f64 v[72:73], v[72:73], v[102:103], -v[156:157]
	v_fmac_f64_e32 v[104:105], v[74:75], v[102:103]
	v_mul_f64 v[74:75], v[50:51], v[140:141]
	v_mul_f64 v[102:103], v[48:49], v[140:141]
	;; [unrolled: 1-line block ×3, first 2 shown]
	v_fma_f64 v[82:83], v[52:53], v[126:127], -v[82:83]
	v_fmac_f64_e32 v[98:99], v[54:55], v[126:127]
	v_fma_f64 v[126:127], v[76:77], v[142:143], -v[38:39]
	v_add_f64 v[38:39], v[90:91], -v[94:95]
	v_add_f64 v[36:37], v[4:5], v[32:33]
	v_fmac_f64_e32 v[28:29], -0.5, v[6:7]
	v_add_f64 v[4:5], v[30:31], v[90:91]
	v_mul_f64 v[118:119], v[60:61], v[118:119]
	v_mul_f64 v[144:145], v[40:41], v[144:145]
	v_fma_f64 v[150:151], v[60:61], v[116:117], -v[150:151]
	v_fma_f64 v[60:61], v[40:41], v[148:149], -v[140:141]
	v_fma_f64 v[40:41], s[4:5], v[38:39], v[28:29]
	v_fmac_f64_e32 v[28:29], s[10:11], v[38:39]
	v_add_f64 v[38:39], v[4:5], v[94:95]
	v_add_f64 v[4:5], v[90:91], v[94:95]
	v_fmac_f64_e32 v[30:31], -0.5, v[4:5]
	v_add_f64 v[4:5], v[70:71], -v[32:33]
	v_mul_f64 v[128:129], v[46:47], v[136:137]
	v_fmac_f64_e32 v[144:145], v[42:43], v[148:149]
	v_fma_f64 v[42:43], s[10:11], v[4:5], v[30:31]
	v_fmac_f64_e32 v[30:31], s[4:5], v[4:5]
	v_add_f64 v[4:5], v[24:25], v[68:69]
	v_mul_f64 v[136:137], v[44:45], v[136:137]
	s_waitcnt vmcnt(0)
	v_fma_f64 v[58:59], v[44:45], v[130:131], -v[128:129]
	v_add_f64 v[44:45], v[4:5], v[64:65]
	v_add_f64 v[4:5], v[68:69], v[64:65]
	v_fmac_f64_e32 v[24:25], -0.5, v[4:5]
	v_add_f64 v[4:5], v[92:93], -v[96:97]
	v_fmac_f64_e32 v[118:119], v[62:63], v[116:117]
	v_fma_f64 v[116:117], v[48:49], v[138:139], -v[74:75]
	v_fma_f64 v[48:49], s[4:5], v[4:5], v[24:25]
	v_fmac_f64_e32 v[24:25], s[10:11], v[4:5]
	v_add_f64 v[4:5], v[26:27], v[92:93]
	v_fmac_f64_e32 v[136:137], v[46:47], v[130:131]
	v_add_f64 v[46:47], v[4:5], v[96:97]
	v_add_f64 v[4:5], v[92:93], v[96:97]
	v_fmac_f64_e32 v[26:27], -0.5, v[4:5]
	v_add_f64 v[4:5], v[68:69], -v[64:65]
	v_fmac_f64_e32 v[102:103], v[50:51], v[138:139]
	v_fma_f64 v[50:51], s[10:11], v[4:5], v[26:27]
	v_fmac_f64_e32 v[26:27], s[4:5], v[4:5]
	v_add_f64 v[4:5], v[20:21], v[58:59]
	v_add_f64 v[52:53], v[4:5], v[60:61]
	v_add_f64 v[4:5], v[58:59], v[60:61]
	v_fmac_f64_e32 v[20:21], -0.5, v[4:5]
	v_add_f64 v[4:5], v[136:137], -v[144:145]
	v_fma_f64 v[56:57], s[4:5], v[4:5], v[20:21]
	v_fmac_f64_e32 v[20:21], s[10:11], v[4:5]
	v_add_f64 v[4:5], v[22:23], v[136:137]
	v_add_f64 v[54:55], v[4:5], v[144:145]
	v_add_f64 v[4:5], v[136:137], v[144:145]
	v_fmac_f64_e32 v[22:23], -0.5, v[4:5]
	v_add_f64 v[4:5], v[58:59], -v[60:61]
	;; [unrolled: 7-line block ×6, first 2 shown]
	v_fma_f64 v[74:75], s[10:11], v[4:5], v[14:15]
	v_fmac_f64_e32 v[14:15], s[4:5], v[4:5]
	v_add_f64 v[4:5], v[8:9], v[82:83]
	v_mul_f64 v[106:107], v[76:77], v[106:107]
	v_add_f64 v[76:77], v[4:5], v[116:117]
	v_add_f64 v[4:5], v[82:83], v[116:117]
	v_fmac_f64_e32 v[8:9], -0.5, v[4:5]
	v_add_f64 v[4:5], v[98:99], -v[102:103]
	v_fma_f64 v[80:81], s[4:5], v[4:5], v[8:9]
	v_fmac_f64_e32 v[8:9], s[10:11], v[4:5]
	v_add_f64 v[4:5], v[10:11], v[98:99]
	v_fmac_f64_e32 v[106:107], v[78:79], v[142:143]
	v_add_f64 v[78:79], v[4:5], v[102:103]
	v_add_f64 v[4:5], v[98:99], v[102:103]
	v_fmac_f64_e32 v[10:11], -0.5, v[4:5]
	v_add_f64 v[4:5], v[82:83], -v[116:117]
	v_add_f64 v[6:7], v[122:123], v[126:127]
	v_fma_f64 v[82:83], s[10:11], v[4:5], v[10:11]
	v_fmac_f64_e32 v[10:11], s[4:5], v[4:5]
	v_add_f64 v[4:5], v[0:1], v[122:123]
	v_fmac_f64_e32 v[0:1], -0.5, v[6:7]
	v_add_f64 v[6:7], v[146:147], -v[106:107]
	v_add_f64 v[34:35], v[146:147], v[106:107]
	v_fma_f64 v[32:33], s[4:5], v[6:7], v[0:1]
	v_fmac_f64_e32 v[0:1], s[10:11], v[6:7]
	v_add_f64 v[6:7], v[2:3], v[146:147]
	v_fmac_f64_e32 v[2:3], -0.5, v[34:35]
	v_add_f64 v[90:91], v[122:123], -v[126:127]
	v_fma_f64 v[34:35], s[10:11], v[90:91], v[2:3]
	v_fmac_f64_e32 v[2:3], s[4:5], v[90:91]
	v_lshrrev_b32_e32 v90, 2, v110
	v_mul_u32_u24_e32 v90, 12, v90
	v_or_b32_e32 v90, v90, v133
	v_lshl_add_u32 v90, v90, 4, 0
	ds_write_b128 v90, v[36:39]
	ds_write_b128 v90, v[40:43] offset:64
	ds_write_b128 v90, v[28:31] offset:128
	v_lshrrev_b32_e32 v28, 2, v115
	v_mul_u32_u24_e32 v28, 12, v28
	v_or_b32_e32 v28, v28, v88
	v_lshl_add_u32 v28, v28, 4, 0
	ds_write_b128 v28, v[44:47]
	ds_write_b128 v28, v[48:51] offset:64
	ds_write_b128 v28, v[24:27] offset:128
	;; [unrolled: 7-line block ×4, first 2 shown]
	v_lshrrev_b32_e32 v16, 2, v84
	v_mul_lo_u32 v16, v16, 12
	v_or_b32_e32 v16, v16, v133
	v_lshl_add_u32 v16, v16, 4, 0
	ds_write_b128 v16, v[68:71]
	ds_write_b128 v16, v[72:75] offset:64
	ds_write_b128 v16, v[12:15] offset:128
	v_lshrrev_b32_e32 v12, 2, v86
	v_mul_lo_u32 v12, v12, 12
	v_or_b32_e32 v12, v12, v158
	v_add_f64 v[4:5], v[4:5], v[126:127]
	v_add_f64 v[6:7], v[6:7], v[106:107]
	v_lshl_add_u32 v12, v12, 4, 0
	ds_write_b128 v12, v[76:79]
	ds_write_b128 v12, v[80:83] offset:64
	ds_write_b128 v12, v[8:11] offset:128
	s_and_saveexec_b64 s[4:5], vcc
	s_cbranch_execz .LBB0_23
; %bb.22:
	v_lshrrev_b32_e32 v8, 2, v87
	v_mul_u32_u24_e32 v8, 12, v8
	v_or_b32_e32 v8, v8, v89
	v_lshl_add_u32 v8, v8, 4, 0
	ds_write_b128 v8, v[4:7]
	ds_write_b128 v8, v[32:35] offset:64
	ds_write_b128 v8, v[0:3] offset:128
.LBB0_23:
	s_or_b64 exec, exec, s[4:5]
	s_waitcnt lgkmcnt(0)
	; wave barrier
	s_waitcnt lgkmcnt(0)
	ds_read_b128 v[28:31], v132
	ds_read_b128 v[24:27], v132 offset:1008
	ds_read_b128 v[80:83], v132 offset:6720
	;; [unrolled: 1-line block ×11, first 2 shown]
	ds_read_b128 v[12:15], v114
	ds_read_b128 v[8:11], v85
	ds_read_b128 v[48:51], v132 offset:10752
	ds_read_b128 v[40:43], v132 offset:11760
	;; [unrolled: 1-line block ×4, first 2 shown]
	s_and_saveexec_b64 s[4:5], vcc
	s_cbranch_execz .LBB0_25
; %bb.24:
	ds_read_b128 v[4:7], v132 offset:6048
	ds_read_b128 v[32:35], v132 offset:12768
	;; [unrolled: 1-line block ×3, first 2 shown]
.LBB0_25:
	s_or_b64 exec, exec, s[4:5]
	s_movk_i32 s4, 0xab
	v_mul_lo_u16_sdwa v85, v110, s4 dst_sel:DWORD dst_unused:UNUSED_PAD src0_sel:BYTE_0 src1_sel:DWORD
	v_lshrrev_b16_e32 v118, 11, v85
	v_mul_lo_u16_e32 v85, 12, v118
	v_sub_u16_e32 v119, v110, v85
	v_mov_b32_e32 v85, 5
	v_lshlrev_b32_sdwa v88, v85, v119 dst_sel:DWORD dst_unused:UNUSED_PAD src0_sel:DWORD src1_sel:BYTE_0
	global_load_dwordx4 v[92:95], v88, s[8:9] offset:176
	global_load_dwordx4 v[134:137], v88, s[8:9] offset:160
	v_mul_lo_u16_sdwa v88, v115, s4 dst_sel:DWORD dst_unused:UNUSED_PAD src0_sel:BYTE_0 src1_sel:DWORD
	v_lshrrev_b16_e32 v124, 11, v88
	v_mul_lo_u16_e32 v88, 12, v124
	v_sub_u16_e32 v125, v115, v88
	v_lshlrev_b32_sdwa v88, v85, v125 dst_sel:DWORD dst_unused:UNUSED_PAD src0_sel:DWORD src1_sel:BYTE_0
	global_load_dwordx4 v[138:141], v88, s[8:9] offset:176
	global_load_dwordx4 v[142:145], v88, s[8:9] offset:160
	v_mul_lo_u16_sdwa v88, v111, s4 dst_sel:DWORD dst_unused:UNUSED_PAD src0_sel:BYTE_0 src1_sel:DWORD
	v_lshrrev_b16_e32 v129, 11, v88
	v_mul_lo_u16_e32 v88, 12, v129
	v_sub_u16_e32 v130, v111, v88
	;; [unrolled: 7-line block ×3, first 2 shown]
	v_lshlrev_b32_sdwa v85, v85, v128 dst_sel:DWORD dst_unused:UNUSED_PAD src0_sel:DWORD src1_sel:BYTE_0
	s_mov_b32 s4, 0xaaab
	global_load_dwordx4 v[154:157], v85, s[8:9] offset:176
	global_load_dwordx4 v[158:161], v85, s[8:9] offset:160
	v_mul_u32_u24_sdwa v85, v84, s4 dst_sel:DWORD dst_unused:UNUSED_PAD src0_sel:WORD_0 src1_sel:DWORD
	v_lshrrev_b32_e32 v123, 19, v85
	v_mul_lo_u16_e32 v85, 12, v123
	v_sub_u16_e32 v122, v84, v85
	v_mul_u32_u24_sdwa v85, v86, s4 dst_sel:DWORD dst_unused:UNUSED_PAD src0_sel:WORD_0 src1_sel:DWORD
	v_lshlrev_b32_e32 v84, 5, v122
	v_lshrrev_b32_e32 v126, 19, v85
	global_load_dwordx4 v[162:165], v84, s[8:9] offset:160
	global_load_dwordx4 v[104:107], v84, s[8:9] offset:176
	v_mul_lo_u16_e32 v84, 12, v126
	v_sub_u16_e32 v121, v86, v84
	v_lshlrev_b32_e32 v84, 5, v121
	v_mul_u32_u24_sdwa v85, v87, s4 dst_sel:DWORD dst_unused:UNUSED_PAD src0_sel:WORD_0 src1_sel:DWORD
	global_load_dwordx4 v[100:103], v84, s[8:9] offset:160
	global_load_dwordx4 v[96:99], v84, s[8:9] offset:176
	v_lshrrev_b32_e32 v116, 19, v85
	v_mul_lo_u16_e32 v84, 12, v116
	v_sub_u16_e32 v117, v87, v84
	v_lshlrev_b32_e32 v84, 5, v117
	global_load_dwordx4 v[88:91], v84, s[8:9] offset:160
	s_nop 0
	global_load_dwordx4 v[84:87], v84, s[8:9] offset:176
	s_mov_b32 s4, 0xe8584caa
	s_mov_b32 s5, 0x3febb67a
	;; [unrolled: 1-line block ×3, first 2 shown]
	v_mov_b32_e32 v133, 4
	s_waitcnt lgkmcnt(0)
	; wave barrier
	s_waitcnt vmcnt(12) lgkmcnt(0)
	v_mul_f64 v[166:167], v[82:83], v[136:137]
	v_mul_f64 v[136:137], v[80:81], v[136:137]
	v_fmac_f64_e32 v[136:137], v[82:83], v[134:135]
	v_mul_f64 v[82:83], v[78:79], v[94:95]
	v_mul_f64 v[94:95], v[76:77], v[94:95]
	v_fma_f64 v[76:77], v[76:77], v[92:93], -v[82:83]
	v_fmac_f64_e32 v[94:95], v[78:79], v[92:93]
	s_waitcnt vmcnt(11)
	v_mul_f64 v[78:79], v[70:71], v[140:141]
	v_mul_f64 v[82:83], v[68:69], v[140:141]
	v_fma_f64 v[68:69], v[68:69], v[138:139], -v[78:79]
	v_fmac_f64_e32 v[82:83], v[70:71], v[138:139]
	v_fma_f64 v[80:81], v[80:81], v[134:135], -v[166:167]
	s_waitcnt vmcnt(8)
	v_mul_f64 v[92:93], v[66:67], v[152:153]
	v_mul_f64 v[140:141], v[64:65], v[152:153]
	v_fma_f64 v[92:93], v[64:65], v[150:151], -v[92:93]
	v_fmac_f64_e32 v[140:141], v[66:67], v[150:151]
	v_mul_f64 v[134:135], v[74:75], v[144:145]
	v_mul_f64 v[144:145], v[72:73], v[144:145]
	v_fma_f64 v[72:73], v[72:73], v[142:143], -v[134:135]
	v_fmac_f64_e32 v[144:145], v[74:75], v[142:143]
	v_mul_f64 v[74:75], v[62:63], v[148:149]
	v_mul_f64 v[134:135], v[60:61], v[148:149]
	s_waitcnt vmcnt(7)
	v_mul_f64 v[70:71], v[54:55], v[156:157]
	v_mul_f64 v[78:79], v[52:53], v[156:157]
	v_fma_f64 v[74:75], v[60:61], v[146:147], -v[74:75]
	v_fmac_f64_e32 v[134:135], v[62:63], v[146:147]
	v_fma_f64 v[146:147], v[52:53], v[154:155], -v[70:71]
	s_waitcnt vmcnt(5)
	v_mul_f64 v[138:139], v[50:51], v[164:165]
	v_mul_f64 v[152:153], v[48:49], v[164:165]
	v_fma_f64 v[138:139], v[48:49], v[162:163], -v[138:139]
	s_waitcnt vmcnt(4)
	v_mul_f64 v[48:49], v[46:47], v[106:107]
	v_fma_f64 v[150:151], v[44:45], v[104:105], -v[48:49]
	v_mul_f64 v[44:45], v[44:45], v[106:107]
	v_fmac_f64_e32 v[44:45], v[46:47], v[104:105]
	s_waitcnt vmcnt(3)
	v_mul_f64 v[46:47], v[42:43], v[102:103]
	v_fma_f64 v[46:47], v[40:41], v[100:101], -v[46:47]
	v_mul_f64 v[40:41], v[40:41], v[102:103]
	v_fmac_f64_e32 v[40:41], v[42:43], v[100:101]
	s_waitcnt vmcnt(2)
	v_mul_f64 v[42:43], v[38:39], v[98:99]
	v_fma_f64 v[42:43], v[36:37], v[96:97], -v[42:43]
	v_mul_f64 v[98:99], v[36:37], v[98:99]
	s_waitcnt vmcnt(1)
	v_mul_f64 v[36:37], v[34:35], v[90:91]
	v_fmac_f64_e32 v[98:99], v[38:39], v[96:97]
	v_fma_f64 v[36:37], v[32:33], v[88:89], -v[36:37]
	v_mul_f64 v[38:39], v[32:33], v[90:91]
	s_waitcnt vmcnt(0)
	v_mul_f64 v[32:33], v[2:3], v[86:87]
	v_fmac_f64_e32 v[38:39], v[34:35], v[88:89]
	v_fma_f64 v[32:33], v[0:1], v[84:85], -v[32:33]
	v_mul_f64 v[34:35], v[0:1], v[86:87]
	v_add_f64 v[0:1], v[28:29], v[80:81]
	v_add_f64 v[48:49], v[0:1], v[76:77]
	;; [unrolled: 1-line block ×3, first 2 shown]
	v_fmac_f64_e32 v[28:29], -0.5, v[0:1]
	v_add_f64 v[0:1], v[136:137], -v[94:95]
	v_fma_f64 v[52:53], s[4:5], v[0:1], v[28:29]
	v_fmac_f64_e32 v[28:29], s[10:11], v[0:1]
	v_add_f64 v[0:1], v[30:31], v[136:137]
	v_fmac_f64_e32 v[152:153], v[50:51], v[162:163]
	v_add_f64 v[50:51], v[0:1], v[94:95]
	v_add_f64 v[0:1], v[136:137], v[94:95]
	v_fmac_f64_e32 v[30:31], -0.5, v[0:1]
	v_add_f64 v[0:1], v[80:81], -v[76:77]
	v_mul_f64 v[142:143], v[58:59], v[160:161]
	v_fmac_f64_e32 v[78:79], v[54:55], v[154:155]
	v_fma_f64 v[54:55], s[10:11], v[0:1], v[30:31]
	v_fmac_f64_e32 v[30:31], s[4:5], v[0:1]
	v_add_f64 v[0:1], v[24:25], v[72:73]
	v_mul_f64 v[148:149], v[56:57], v[160:161]
	v_fma_f64 v[142:143], v[56:57], v[158:159], -v[142:143]
	v_add_f64 v[56:57], v[0:1], v[68:69]
	v_add_f64 v[0:1], v[72:73], v[68:69]
	v_fmac_f64_e32 v[24:25], -0.5, v[0:1]
	v_add_f64 v[0:1], v[144:145], -v[82:83]
	v_fma_f64 v[60:61], s[4:5], v[0:1], v[24:25]
	v_fmac_f64_e32 v[24:25], s[10:11], v[0:1]
	v_add_f64 v[0:1], v[26:27], v[144:145]
	v_fmac_f64_e32 v[148:149], v[58:59], v[158:159]
	v_add_f64 v[58:59], v[0:1], v[82:83]
	v_add_f64 v[0:1], v[144:145], v[82:83]
	v_fmac_f64_e32 v[26:27], -0.5, v[0:1]
	v_add_f64 v[0:1], v[72:73], -v[68:69]
	v_fma_f64 v[62:63], s[10:11], v[0:1], v[26:27]
	v_fmac_f64_e32 v[26:27], s[4:5], v[0:1]
	v_add_f64 v[0:1], v[20:21], v[92:93]
	v_add_f64 v[64:65], v[0:1], v[74:75]
	v_add_f64 v[0:1], v[92:93], v[74:75]
	v_fmac_f64_e32 v[20:21], -0.5, v[0:1]
	v_add_f64 v[0:1], v[140:141], -v[134:135]
	v_fma_f64 v[68:69], s[4:5], v[0:1], v[20:21]
	v_fmac_f64_e32 v[20:21], s[10:11], v[0:1]
	v_add_f64 v[0:1], v[22:23], v[140:141]
	;; [unrolled: 7-line block ×5, first 2 shown]
	v_add_f64 v[80:81], v[0:1], v[150:151]
	v_add_f64 v[0:1], v[138:139], v[150:151]
	v_fmac_f64_e32 v[12:13], -0.5, v[0:1]
	v_add_f64 v[0:1], v[152:153], -v[44:45]
	v_fmac_f64_e32 v[34:35], v[2:3], v[84:85]
	v_fma_f64 v[84:85], s[4:5], v[0:1], v[12:13]
	v_fmac_f64_e32 v[12:13], s[10:11], v[0:1]
	v_add_f64 v[0:1], v[14:15], v[152:153]
	v_add_f64 v[82:83], v[0:1], v[44:45]
	;; [unrolled: 1-line block ×3, first 2 shown]
	v_fmac_f64_e32 v[14:15], -0.5, v[0:1]
	v_add_f64 v[0:1], v[138:139], -v[150:151]
	v_fma_f64 v[86:87], s[10:11], v[0:1], v[14:15]
	v_fmac_f64_e32 v[14:15], s[4:5], v[0:1]
	v_add_f64 v[0:1], v[8:9], v[46:47]
	v_add_f64 v[88:89], v[0:1], v[42:43]
	;; [unrolled: 1-line block ×3, first 2 shown]
	v_mul_u32_u24_e32 v96, 0x240, v118
	v_lshlrev_b32_sdwa v97, v133, v119 dst_sel:DWORD dst_unused:UNUSED_PAD src0_sel:DWORD src1_sel:BYTE_0
	v_fmac_f64_e32 v[8:9], -0.5, v[0:1]
	v_add_f64 v[0:1], v[40:41], -v[98:99]
	v_add3_u32 v96, 0, v96, v97
	v_fma_f64 v[92:93], s[4:5], v[0:1], v[8:9]
	v_fmac_f64_e32 v[8:9], s[10:11], v[0:1]
	v_add_f64 v[0:1], v[10:11], v[40:41]
	ds_write_b128 v96, v[48:51]
	ds_write_b128 v96, v[52:55] offset:192
	ds_write_b128 v96, v[28:31] offset:384
	v_mul_u32_u24_e32 v28, 0x240, v124
	v_lshlrev_b32_sdwa v29, v133, v125 dst_sel:DWORD dst_unused:UNUSED_PAD src0_sel:DWORD src1_sel:BYTE_0
	v_add_f64 v[90:91], v[0:1], v[98:99]
	v_add_f64 v[0:1], v[40:41], v[98:99]
	v_add3_u32 v28, 0, v28, v29
	v_fmac_f64_e32 v[10:11], -0.5, v[0:1]
	v_add_f64 v[0:1], v[46:47], -v[42:43]
	ds_write_b128 v28, v[56:59]
	ds_write_b128 v28, v[60:63] offset:192
	ds_write_b128 v28, v[24:27] offset:384
	v_mul_u32_u24_e32 v24, 0x240, v129
	v_lshlrev_b32_sdwa v25, v133, v130 dst_sel:DWORD dst_unused:UNUSED_PAD src0_sel:DWORD src1_sel:BYTE_0
	v_fma_f64 v[94:95], s[10:11], v[0:1], v[10:11]
	v_fmac_f64_e32 v[10:11], s[4:5], v[0:1]
	v_add_f64 v[0:1], v[36:37], v[32:33]
	v_add3_u32 v24, 0, v24, v25
	v_fma_f64 v[40:41], -0.5, v[0:1], v[4:5]
	v_add_f64 v[42:43], v[38:39], -v[34:35]
	ds_write_b128 v24, v[64:67]
	ds_write_b128 v24, v[68:71] offset:192
	ds_write_b128 v24, v[20:23] offset:384
	v_mul_u32_u24_e32 v20, 0x240, v127
	v_lshlrev_b32_sdwa v21, v133, v128 dst_sel:DWORD dst_unused:UNUSED_PAD src0_sel:DWORD src1_sel:BYTE_0
	v_fma_f64 v[0:1], s[10:11], v[42:43], v[40:41]
	v_add3_u32 v20, 0, v20, v21
	s_mov_b32 s11, 0x5040100
	s_movk_i32 s10, 0x240
	ds_write_b128 v20, v[72:75]
	ds_write_b128 v20, v[76:79] offset:192
	ds_write_b128 v20, v[16:19] offset:384
	v_perm_b32 v16, v126, v123, s11
	v_pk_mul_lo_u16 v16, v16, s10 op_sel_hi:[1,0]
	v_lshlrev_b32_e32 v18, 4, v122
	v_and_b32_e32 v17, 0xffc0, v16
	v_add_f64 v[2:3], v[38:39], v[34:35]
	v_add3_u32 v17, 0, v17, v18
	v_fma_f64 v[44:45], -0.5, v[2:3], v[6:7]
	v_add_f64 v[46:47], v[36:37], -v[32:33]
	ds_write_b128 v17, v[80:83]
	ds_write_b128 v17, v[84:87] offset:192
	ds_write_b128 v17, v[12:15] offset:384
	v_lshrrev_b32_e32 v12, 16, v16
	v_lshlrev_b32_e32 v13, 4, v121
	v_fma_f64 v[2:3], s[4:5], v[46:47], v[44:45]
	v_add3_u32 v12, 0, v12, v13
	ds_write_b128 v12, v[88:91]
	ds_write_b128 v12, v[92:95] offset:192
	ds_write_b128 v12, v[8:11] offset:384
	s_and_saveexec_b64 s[10:11], vcc
	s_cbranch_execz .LBB0_27
; %bb.26:
	v_mul_f64 v[10:11], v[42:43], s[4:5]
	v_add_f64 v[6:7], v[6:7], v[38:39]
	v_add_f64 v[4:5], v[4:5], v[36:37]
	;; [unrolled: 1-line block ×5, first 2 shown]
	v_mul_lo_u16_e32 v4, 36, v116
	v_lshlrev_b32_e32 v5, 4, v117
	v_lshlrev_b32_e32 v4, 4, v4
	v_mul_f64 v[8:9], v[46:47], s[4:5]
	v_add3_u32 v4, 0, v5, v4
	v_add_f64 v[8:9], v[44:45], -v[8:9]
	ds_write_b128 v4, v[10:13]
	ds_write_b128 v4, v[6:9] offset:192
	ds_write_b128 v4, v[0:3] offset:384
.LBB0_27:
	s_or_b64 exec, exec, s[10:11]
	v_subrev_u32_e32 v80, 36, v110
	v_cmp_gt_u32_e32 vcc, 36, v110
	v_mov_b32_e32 v85, 0
	s_waitcnt lgkmcnt(0)
	v_cndmask_b32_e32 v134, v80, v110, vcc
	v_lshlrev_b32_e32 v84, 2, v134
	v_lshl_add_u64 v[80:81], v[84:85], 4, s[8:9]
	; wave barrier
	ds_read_b128 v[20:23], v132
	ds_read_b128 v[86:89], v114
	ds_read_b128 v[76:79], v132 offset:8064
	ds_read_b128 v[72:75], v132 offset:12096
	;; [unrolled: 1-line block ×18, first 2 shown]
	global_load_dwordx4 v[90:93], v[80:81], off offset:592
	global_load_dwordx4 v[94:97], v[80:81], off offset:576
	;; [unrolled: 1-line block ×4, first 2 shown]
	v_mov_b32_e32 v121, 57
	v_mov_b32_e32 v122, 6
	s_mov_b32 s10, 0x134454ff
	s_mov_b32 s11, 0x3fee6f0e
	;; [unrolled: 1-line block ×10, first 2 shown]
	v_cmp_lt_u32_e32 vcc, 35, v110
	s_waitcnt vmcnt(0) lgkmcnt(14)
	v_mul_f64 v[80:81], v[88:89], v[104:105]
	v_fma_f64 v[82:83], v[86:87], v[102:103], -v[80:81]
	v_mul_f64 v[80:81], v[86:87], v[104:105]
	v_mul_f64 v[86:87], v[78:79], v[100:101]
	v_fma_f64 v[86:87], v[76:77], v[98:99], -v[86:87]
	v_mul_f64 v[76:77], v[76:77], v[100:101]
	v_fmac_f64_e32 v[76:77], v[78:79], v[98:99]
	v_mul_f64 v[78:79], v[74:75], v[96:97]
	v_fmac_f64_e32 v[80:81], v[88:89], v[102:103]
	v_fma_f64 v[88:89], v[72:73], v[94:95], -v[78:79]
	v_mul_f64 v[72:73], v[72:73], v[96:97]
	v_fmac_f64_e32 v[72:73], v[74:75], v[94:95]
	v_mul_f64 v[74:75], v[70:71], v[92:93]
	v_fma_f64 v[94:95], v[68:69], v[90:91], -v[74:75]
	v_mul_f64 v[68:69], v[68:69], v[92:93]
	v_fmac_f64_e32 v[68:69], v[70:71], v[90:91]
	v_mul_lo_u16_sdwa v70, v115, v121 dst_sel:DWORD dst_unused:UNUSED_PAD src0_sel:BYTE_0 src1_sel:DWORD
	v_lshrrev_b16_e32 v84, 11, v70
	v_mul_lo_u16_e32 v70, 36, v84
	v_sub_u16_e32 v135, v115, v70
	v_lshlrev_b32_sdwa v70, v122, v135 dst_sel:DWORD dst_unused:UNUSED_PAD src0_sel:DWORD src1_sel:BYTE_0
	global_load_dwordx4 v[98:101], v70, s[8:9] offset:592
	global_load_dwordx4 v[114:117], v70, s[8:9] offset:576
	;; [unrolled: 1-line block ×4, first 2 shown]
	s_waitcnt vmcnt(3) lgkmcnt(10)
	v_mul_f64 v[96:97], v[52:53], v[100:101]
	v_fmac_f64_e32 v[96:97], v[54:55], v[98:99]
	s_waitcnt vmcnt(1)
	v_mul_f64 v[78:79], v[60:61], v[92:93]
	s_waitcnt vmcnt(0)
	v_mul_f64 v[70:71], v[66:67], v[104:105]
	v_fma_f64 v[70:71], v[64:65], v[102:103], -v[70:71]
	v_mul_f64 v[74:75], v[64:65], v[104:105]
	v_mul_f64 v[64:65], v[62:63], v[92:93]
	v_fmac_f64_e32 v[74:75], v[66:67], v[102:103]
	v_fma_f64 v[102:103], v[60:61], v[90:91], -v[64:65]
	v_mul_f64 v[60:61], v[58:59], v[116:117]
	v_fmac_f64_e32 v[78:79], v[62:63], v[90:91]
	v_fma_f64 v[104:105], v[56:57], v[114:115], -v[60:61]
	v_mul_f64 v[90:91], v[56:57], v[116:117]
	v_mul_f64 v[56:57], v[54:55], v[100:101]
	v_fma_f64 v[66:67], v[52:53], v[98:99], -v[56:57]
	v_mul_lo_u16_sdwa v52, v111, v121 dst_sel:DWORD dst_unused:UNUSED_PAD src0_sel:BYTE_0 src1_sel:DWORD
	v_lshrrev_b16_e32 v136, 11, v52
	v_mul_lo_u16_e32 v52, 36, v136
	v_sub_u16_e32 v137, v111, v52
	v_lshlrev_b32_sdwa v64, v122, v137 dst_sel:DWORD dst_unused:UNUSED_PAD src0_sel:DWORD src1_sel:BYTE_0
	v_fmac_f64_e32 v[90:91], v[58:59], v[114:115]
	global_load_dwordx4 v[52:55], v64, s[8:9] offset:592
	global_load_dwordx4 v[56:59], v64, s[8:9] offset:576
	;; [unrolled: 1-line block ×4, first 2 shown]
	s_waitcnt vmcnt(0) lgkmcnt(8)
	v_mul_f64 v[64:65], v[50:51], v[100:101]
	v_fma_f64 v[106:107], v[48:49], v[98:99], -v[64:65]
	v_mul_f64 v[92:93], v[48:49], v[100:101]
	s_waitcnt lgkmcnt(7)
	v_mul_f64 v[48:49], v[46:47], v[62:63]
	v_fmac_f64_e32 v[92:93], v[50:51], v[98:99]
	v_fma_f64 v[114:115], v[44:45], v[60:61], -v[48:49]
	v_mul_f64 v[98:99], v[44:45], v[62:63]
	s_waitcnt lgkmcnt(6)
	v_mul_f64 v[44:45], v[42:43], v[58:59]
	v_fma_f64 v[116:117], v[40:41], v[56:57], -v[44:45]
	v_mul_f64 v[100:101], v[40:41], v[58:59]
	s_waitcnt lgkmcnt(5)
	v_mul_f64 v[40:41], v[38:39], v[54:55]
	v_fma_f64 v[118:119], v[36:37], v[52:53], -v[40:41]
	v_mul_f64 v[36:37], v[36:37], v[54:55]
	v_fmac_f64_e32 v[36:37], v[38:39], v[52:53]
	v_mul_lo_u16_sdwa v38, v120, v121 dst_sel:DWORD dst_unused:UNUSED_PAD src0_sel:BYTE_0 src1_sel:DWORD
	v_lshrrev_b16_e32 v138, 11, v38
	v_mul_lo_u16_e32 v38, 36, v138
	v_sub_u16_e32 v139, v120, v38
	v_lshlrev_b32_sdwa v38, v122, v139 dst_sel:DWORD dst_unused:UNUSED_PAD src0_sel:DWORD src1_sel:BYTE_0
	v_fmac_f64_e32 v[98:99], v[46:47], v[60:61]
	v_fmac_f64_e32 v[100:101], v[42:43], v[56:57]
	global_load_dwordx4 v[40:43], v38, s[8:9] offset:592
	global_load_dwordx4 v[44:47], v38, s[8:9] offset:576
	;; [unrolled: 1-line block ×4, first 2 shown]
	s_waitcnt lgkmcnt(0)
	; wave barrier
	s_waitcnt vmcnt(3) lgkmcnt(0)
	v_mul_f64 v[126:127], v[8:9], v[42:43]
	s_waitcnt vmcnt(2)
	v_mul_f64 v[124:125], v[24:25], v[46:47]
	s_waitcnt vmcnt(1)
	;; [unrolled: 2-line block ×3, first 2 shown]
	v_mul_f64 v[38:39], v[34:35], v[54:55]
	v_fma_f64 v[38:39], v[32:33], v[52:53], -v[38:39]
	v_mul_f64 v[120:121], v[32:33], v[54:55]
	v_mul_f64 v[32:33], v[30:31], v[50:51]
	v_fma_f64 v[128:129], v[28:29], v[48:49], -v[32:33]
	v_mul_f64 v[28:29], v[26:27], v[46:47]
	v_fma_f64 v[130:131], v[24:25], v[44:45], -v[28:29]
	v_mul_f64 v[24:25], v[10:11], v[42:43]
	v_fmac_f64_e32 v[122:123], v[30:31], v[48:49]
	v_fma_f64 v[30:31], v[8:9], v[40:41], -v[24:25]
	v_add_f64 v[8:9], v[20:21], v[82:83]
	v_add_f64 v[8:9], v[8:9], v[86:87]
	;; [unrolled: 1-line block ×3, first 2 shown]
	v_fmac_f64_e32 v[124:125], v[26:27], v[44:45]
	v_add_f64 v[44:45], v[8:9], v[94:95]
	v_add_f64 v[8:9], v[86:87], v[88:89]
	v_fmac_f64_e32 v[126:127], v[10:11], v[40:41]
	v_fma_f64 v[40:41], -0.5, v[8:9], v[20:21]
	v_add_f64 v[8:9], v[80:81], -v[68:69]
	v_fma_f64 v[48:49], s[10:11], v[8:9], v[40:41]
	v_add_f64 v[10:11], v[76:77], -v[72:73]
	v_add_f64 v[24:25], v[82:83], -v[86:87]
	;; [unrolled: 1-line block ×3, first 2 shown]
	v_fmac_f64_e32 v[40:41], s[14:15], v[8:9]
	v_fmac_f64_e32 v[48:49], s[4:5], v[10:11]
	v_add_f64 v[24:25], v[24:25], v[26:27]
	v_fmac_f64_e32 v[40:41], s[16:17], v[10:11]
	v_fmac_f64_e32 v[48:49], s[12:13], v[24:25]
	v_fmac_f64_e32 v[40:41], s[12:13], v[24:25]
	v_add_f64 v[24:25], v[82:83], v[94:95]
	v_fmac_f64_e32 v[20:21], -0.5, v[24:25]
	v_fmac_f64_e32 v[120:121], v[34:35], v[52:53]
	v_fma_f64 v[52:53], s[14:15], v[10:11], v[20:21]
	v_fmac_f64_e32 v[20:21], s[10:11], v[10:11]
	v_fmac_f64_e32 v[52:53], s[4:5], v[8:9]
	v_fmac_f64_e32 v[20:21], s[16:17], v[8:9]
	v_add_f64 v[8:9], v[22:23], v[80:81]
	v_add_f64 v[8:9], v[8:9], v[76:77]
	v_add_f64 v[8:9], v[8:9], v[72:73]
	v_add_f64 v[24:25], v[86:87], -v[82:83]
	v_add_f64 v[26:27], v[88:89], -v[94:95]
	v_add_f64 v[46:47], v[8:9], v[68:69]
	v_add_f64 v[8:9], v[76:77], v[72:73]
	v_add_f64 v[24:25], v[24:25], v[26:27]
	v_fma_f64 v[42:43], -0.5, v[8:9], v[22:23]
	v_add_f64 v[8:9], v[82:83], -v[94:95]
	v_fmac_f64_e32 v[52:53], s[12:13], v[24:25]
	v_fmac_f64_e32 v[20:21], s[12:13], v[24:25]
	v_fma_f64 v[50:51], s[14:15], v[8:9], v[42:43]
	v_add_f64 v[10:11], v[86:87], -v[88:89]
	v_add_f64 v[24:25], v[80:81], -v[76:77]
	v_add_f64 v[26:27], v[68:69], -v[72:73]
	v_fmac_f64_e32 v[42:43], s[10:11], v[8:9]
	v_fmac_f64_e32 v[50:51], s[16:17], v[10:11]
	v_add_f64 v[24:25], v[24:25], v[26:27]
	v_fmac_f64_e32 v[42:43], s[4:5], v[10:11]
	v_fmac_f64_e32 v[50:51], s[12:13], v[24:25]
	v_fmac_f64_e32 v[42:43], s[12:13], v[24:25]
	v_add_f64 v[24:25], v[80:81], v[68:69]
	v_fmac_f64_e32 v[22:23], -0.5, v[24:25]
	v_fma_f64 v[54:55], s[10:11], v[10:11], v[22:23]
	v_fmac_f64_e32 v[22:23], s[14:15], v[10:11]
	v_fmac_f64_e32 v[54:55], s[16:17], v[8:9]
	v_fmac_f64_e32 v[22:23], s[4:5], v[8:9]
	v_add_f64 v[8:9], v[16:17], v[70:71]
	v_add_f64 v[8:9], v[8:9], v[102:103]
	v_add_f64 v[8:9], v[8:9], v[104:105]
	v_add_f64 v[24:25], v[76:77], -v[80:81]
	v_add_f64 v[26:27], v[72:73], -v[68:69]
	v_add_f64 v[60:61], v[8:9], v[66:67]
	v_add_f64 v[8:9], v[102:103], v[104:105]
	v_add_f64 v[24:25], v[24:25], v[26:27]
	v_fma_f64 v[56:57], -0.5, v[8:9], v[16:17]
	v_add_f64 v[8:9], v[74:75], -v[96:97]
	v_fmac_f64_e32 v[54:55], s[12:13], v[24:25]
	v_fmac_f64_e32 v[22:23], s[12:13], v[24:25]
	v_fma_f64 v[64:65], s[10:11], v[8:9], v[56:57]
	v_add_f64 v[10:11], v[78:79], -v[90:91]
	v_add_f64 v[24:25], v[70:71], -v[102:103]
	v_add_f64 v[26:27], v[66:67], -v[104:105]
	v_fmac_f64_e32 v[56:57], s[14:15], v[8:9]
	v_fmac_f64_e32 v[64:65], s[4:5], v[10:11]
	v_add_f64 v[24:25], v[24:25], v[26:27]
	v_fmac_f64_e32 v[56:57], s[16:17], v[10:11]
	v_fmac_f64_e32 v[64:65], s[12:13], v[24:25]
	v_fmac_f64_e32 v[56:57], s[12:13], v[24:25]
	v_add_f64 v[24:25], v[70:71], v[66:67]
	v_fmac_f64_e32 v[16:17], -0.5, v[24:25]
	;; [unrolled: 28-line block ×5, first 2 shown]
	v_fma_f64 v[82:83], s[10:11], v[26:27], v[14:15]
	v_add_f64 v[28:29], v[98:99], -v[92:93]
	v_add_f64 v[32:33], v[100:101], -v[36:37]
	v_fmac_f64_e32 v[14:15], s[14:15], v[26:27]
	v_add_f64 v[26:27], v[128:129], v[130:131]
	v_fmac_f64_e32 v[82:83], s[16:17], v[24:25]
	v_add_f64 v[28:29], v[28:29], v[32:33]
	v_fmac_f64_e32 v[14:15], s[4:5], v[24:25]
	v_fma_f64 v[32:33], -0.5, v[26:27], v[4:5]
	v_add_f64 v[26:27], v[120:121], -v[126:127]
	v_fmac_f64_e32 v[82:83], s[12:13], v[28:29]
	v_fmac_f64_e32 v[14:15], s[12:13], v[28:29]
	v_fma_f64 v[28:29], s[10:11], v[26:27], v[32:33]
	v_add_f64 v[34:35], v[122:123], -v[124:125]
	v_add_f64 v[36:37], v[38:39], -v[128:129]
	;; [unrolled: 1-line block ×3, first 2 shown]
	v_fmac_f64_e32 v[32:33], s[14:15], v[26:27]
	v_fmac_f64_e32 v[28:29], s[4:5], v[34:35]
	v_add_f64 v[36:37], v[36:37], v[86:87]
	v_fmac_f64_e32 v[32:33], s[16:17], v[34:35]
	v_fmac_f64_e32 v[28:29], s[12:13], v[36:37]
	;; [unrolled: 1-line block ×3, first 2 shown]
	v_add_f64 v[36:37], v[38:39], v[30:31]
	v_add_f64 v[24:25], v[4:5], v[38:39]
	v_fmac_f64_e32 v[4:5], -0.5, v[36:37]
	v_fma_f64 v[36:37], s[14:15], v[34:35], v[4:5]
	v_add_f64 v[86:87], v[128:129], -v[38:39]
	v_add_f64 v[88:89], v[130:131], -v[30:31]
	v_fmac_f64_e32 v[4:5], s[10:11], v[34:35]
	v_add_f64 v[24:25], v[24:25], v[128:129]
	v_fmac_f64_e32 v[36:37], s[4:5], v[26:27]
	v_add_f64 v[86:87], v[86:87], v[88:89]
	;; [unrolled: 2-line block ×3, first 2 shown]
	v_add_f64 v[24:25], v[24:25], v[130:131]
	v_fmac_f64_e32 v[36:37], s[12:13], v[86:87]
	v_fmac_f64_e32 v[4:5], s[12:13], v[86:87]
	v_fma_f64 v[34:35], -0.5, v[34:35], v[6:7]
	v_add_f64 v[86:87], v[38:39], -v[30:31]
	v_add_f64 v[24:25], v[24:25], v[30:31]
	v_fma_f64 v[30:31], s[14:15], v[86:87], v[34:35]
	v_add_f64 v[88:89], v[128:129], -v[130:131]
	v_add_f64 v[38:39], v[120:121], -v[122:123]
	v_add_f64 v[90:91], v[126:127], -v[124:125]
	v_fmac_f64_e32 v[34:35], s[10:11], v[86:87]
	v_fmac_f64_e32 v[30:31], s[16:17], v[88:89]
	v_add_f64 v[38:39], v[38:39], v[90:91]
	v_fmac_f64_e32 v[34:35], s[4:5], v[88:89]
	v_fmac_f64_e32 v[30:31], s[12:13], v[38:39]
	;; [unrolled: 1-line block ×3, first 2 shown]
	v_add_f64 v[38:39], v[120:121], v[126:127]
	v_add_f64 v[26:27], v[6:7], v[120:121]
	v_fmac_f64_e32 v[6:7], -0.5, v[38:39]
	v_fma_f64 v[38:39], s[10:11], v[88:89], v[6:7]
	v_fmac_f64_e32 v[6:7], s[14:15], v[88:89]
	v_fmac_f64_e32 v[38:39], s[16:17], v[86:87]
	v_fmac_f64_e32 v[6:7], s[4:5], v[86:87]
	v_mov_b32_e32 v86, 0xb40
	v_cndmask_b32_e32 v86, 0, v86, vcc
	v_lshlrev_b32_e32 v87, 4, v134
	v_add3_u32 v86, 0, v86, v87
	ds_write_b128 v86, v[44:47]
	ds_write_b128 v86, v[48:51] offset:576
	ds_write_b128 v86, v[52:55] offset:1152
	;; [unrolled: 1-line block ×4, first 2 shown]
	v_mul_u32_u24_e32 v20, 0xb40, v84
	v_lshlrev_b32_sdwa v21, v133, v135 dst_sel:DWORD dst_unused:UNUSED_PAD src0_sel:DWORD src1_sel:BYTE_0
	v_add3_u32 v20, 0, v20, v21
	ds_write_b128 v20, v[60:63]
	ds_write_b128 v20, v[64:67] offset:576
	ds_write_b128 v20, v[68:71] offset:1152
	;; [unrolled: 1-line block ×4, first 2 shown]
	v_mul_u32_u24_e32 v16, 0xb40, v136
	v_lshlrev_b32_sdwa v17, v133, v137 dst_sel:DWORD dst_unused:UNUSED_PAD src0_sel:DWORD src1_sel:BYTE_0
	v_add_f64 v[26:27], v[26:27], v[122:123]
	v_add3_u32 v16, 0, v16, v17
	v_add_f64 v[26:27], v[26:27], v[124:125]
	v_add_f64 v[90:91], v[122:123], -v[120:121]
	v_add_f64 v[92:93], v[124:125], -v[126:127]
	ds_write_b128 v16, v[72:75]
	ds_write_b128 v16, v[76:79] offset:576
	ds_write_b128 v16, v[80:83] offset:1152
	;; [unrolled: 1-line block ×4, first 2 shown]
	v_mul_u32_u24_e32 v12, 0xb40, v138
	v_lshlrev_b32_sdwa v13, v133, v139 dst_sel:DWORD dst_unused:UNUSED_PAD src0_sel:DWORD src1_sel:BYTE_0
	v_add_f64 v[26:27], v[26:27], v[126:127]
	v_add_f64 v[90:91], v[90:91], v[92:93]
	v_add3_u32 v12, 0, v12, v13
	v_fmac_f64_e32 v[38:39], s[12:13], v[90:91]
	v_fmac_f64_e32 v[6:7], s[12:13], v[90:91]
	ds_write_b128 v12, v[24:27]
	ds_write_b128 v12, v[28:31] offset:576
	ds_write_b128 v12, v[36:39] offset:1152
	ds_write_b128 v12, v[4:7] offset:1728
	ds_write_b128 v12, v[32:35] offset:2304
	s_waitcnt lgkmcnt(0)
	; wave barrier
	s_waitcnt lgkmcnt(0)
	ds_read_b128 v[16:19], v132
	ds_read_b128 v[80:83], v132 offset:2880
	ds_read_b128 v[76:79], v132 offset:5760
	;; [unrolled: 1-line block ×13, first 2 shown]
	v_cmp_gt_u32_e32 vcc, 54, v110
	s_and_saveexec_b64 s[4:5], vcc
	s_cbranch_execz .LBB0_29
; %bb.28:
	ds_read_b128 v[8:11], v132 offset:2016
	ds_read_b128 v[24:27], v132 offset:4896
	;; [unrolled: 1-line block ×7, first 2 shown]
.LBB0_29:
	s_or_b64 exec, exec, s[4:5]
	v_mul_u32_u24_e32 v84, 6, v110
	v_lshlrev_b32_e32 v84, 4, v84
	global_load_dwordx4 v[86:89], v84, s[8:9] offset:2848
	global_load_dwordx4 v[90:93], v84, s[8:9] offset:2864
	;; [unrolled: 1-line block ×6, first 2 shown]
	s_mov_b64 s[4:5], 0x17a0
	v_lshl_add_u64 v[84:85], s[8:9], 0, v[84:85]
	v_lshl_add_u64 v[84:85], v[84:85], 0, s[4:5]
	global_load_dwordx4 v[118:121], v[84:85], off offset:2848
	global_load_dwordx4 v[122:125], v[84:85], off offset:2864
	;; [unrolled: 1-line block ×6, first 2 shown]
	s_mov_b32 s12, 0x37e14327
	s_mov_b32 s14, 0x36b3c0b5
	;; [unrolled: 1-line block ×20, first 2 shown]
	s_waitcnt lgkmcnt(0)
	; wave barrier
	s_waitcnt vmcnt(11) lgkmcnt(0)
	v_mul_f64 v[84:85], v[82:83], v[88:89]
	v_mul_f64 v[88:89], v[80:81], v[88:89]
	s_waitcnt vmcnt(10)
	v_mul_f64 v[106:107], v[78:79], v[92:93]
	v_mul_f64 v[92:93], v[76:77], v[92:93]
	s_waitcnt vmcnt(7)
	v_mul_f64 v[148:149], v[66:67], v[104:105]
	s_waitcnt vmcnt(6)
	v_mul_f64 v[150:151], v[62:63], v[116:117]
	v_mul_f64 v[116:117], v[60:61], v[116:117]
	;; [unrolled: 1-line block ×5, first 2 shown]
	v_fma_f64 v[80:81], v[80:81], v[86:87], -v[84:85]
	v_fmac_f64_e32 v[88:89], v[82:83], v[86:87]
	v_fma_f64 v[76:77], v[76:77], v[90:91], -v[106:107]
	v_fma_f64 v[64:65], v[64:65], v[102:103], -v[148:149]
	;; [unrolled: 1-line block ×3, first 2 shown]
	v_fmac_f64_e32 v[116:117], v[62:63], v[114:115]
	v_mul_f64 v[96:97], v[72:73], v[96:97]
	v_mul_f64 v[100:101], v[68:69], v[100:101]
	v_fmac_f64_e32 v[92:93], v[78:79], v[90:91]
	v_fma_f64 v[72:73], v[72:73], v[94:95], -v[130:131]
	v_fma_f64 v[68:69], v[68:69], v[98:99], -v[146:147]
	v_fmac_f64_e32 v[104:105], v[66:67], v[102:103]
	s_waitcnt vmcnt(5)
	v_mul_f64 v[62:63], v[22:23], v[120:121]
	v_add_f64 v[106:107], v[80:81], v[60:61]
	v_add_f64 v[114:115], v[88:89], v[116:117]
	v_add_f64 v[60:61], v[80:81], -v[60:61]
	v_add_f64 v[80:81], v[88:89], -v[116:117]
	v_add_f64 v[88:89], v[76:77], v[64:65]
	v_fmac_f64_e32 v[96:97], v[74:75], v[94:95]
	v_fmac_f64_e32 v[100:101], v[70:71], v[98:99]
	v_mul_f64 v[66:67], v[20:21], v[120:121]
	v_add_f64 v[116:117], v[92:93], v[104:105]
	v_add_f64 v[64:65], v[76:77], -v[64:65]
	v_add_f64 v[76:77], v[92:93], -v[104:105]
	v_add_f64 v[92:93], v[72:73], v[68:69]
	v_fma_f64 v[62:63], v[20:21], v[118:119], -v[62:63]
	v_add_f64 v[20:21], v[88:89], v[106:107]
	v_add_f64 v[104:105], v[96:97], v[100:101]
	v_fmac_f64_e32 v[66:67], v[22:23], v[118:119]
	v_add_f64 v[22:23], v[116:117], v[114:115]
	v_add_f64 v[20:21], v[92:93], v[20:21]
	s_waitcnt vmcnt(3)
	v_mul_f64 v[78:79], v[46:47], v[128:129]
	v_mul_f64 v[82:83], v[44:45], v[128:129]
	s_waitcnt vmcnt(2)
	v_mul_f64 v[84:85], v[50:51], v[136:137]
	v_mul_f64 v[86:87], v[48:49], v[136:137]
	;; [unrolled: 3-line block ×4, first 2 shown]
	v_add_f64 v[68:69], v[68:69], -v[72:73]
	v_add_f64 v[72:73], v[100:101], -v[96:97]
	v_add_f64 v[22:23], v[104:105], v[22:23]
	v_add_f64 v[16:17], v[16:17], v[20:21]
	v_mul_f64 v[70:71], v[42:43], v[124:125]
	v_mul_f64 v[74:75], v[40:41], v[124:125]
	v_fma_f64 v[78:79], v[44:45], v[126:127], -v[78:79]
	v_fmac_f64_e32 v[82:83], v[46:47], v[126:127]
	v_fma_f64 v[84:85], v[48:49], v[134:135], -v[84:85]
	v_fmac_f64_e32 v[86:87], v[50:51], v[134:135]
	;; [unrolled: 2-line block ×4, first 2 shown]
	v_add_f64 v[44:45], v[106:107], -v[92:93]
	v_add_f64 v[46:47], v[114:115], -v[104:105]
	;; [unrolled: 1-line block ×4, first 2 shown]
	v_add_f64 v[52:53], v[68:69], v[64:65]
	v_add_f64 v[54:55], v[72:73], v[76:77]
	v_add_f64 v[56:57], v[68:69], -v[64:65]
	v_add_f64 v[58:59], v[72:73], -v[76:77]
	v_add_f64 v[18:19], v[18:19], v[22:23]
	v_mov_b64_e32 v[98:99], v[16:17]
	v_fma_f64 v[70:71], v[40:41], v[122:123], -v[70:71]
	v_fmac_f64_e32 v[74:75], v[42:43], v[122:123]
	v_add_f64 v[40:41], v[88:89], -v[106:107]
	v_add_f64 v[42:43], v[116:117], -v[114:115]
	;; [unrolled: 1-line block ×6, first 2 shown]
	v_add_f64 v[52:53], v[52:53], v[60:61]
	v_add_f64 v[54:55], v[54:55], v[80:81]
	v_mul_f64 v[44:45], v[44:45], s[12:13]
	v_mul_f64 v[46:47], v[46:47], s[12:13]
	;; [unrolled: 1-line block ×6, first 2 shown]
	v_fmac_f64_e32 v[98:99], s[16:17], v[20:21]
	v_mov_b64_e32 v[20:21], v[18:19]
	v_mul_f64 v[58:59], v[64:65], s[4:5]
	v_mul_f64 v[92:93], v[76:77], s[4:5]
	v_fmac_f64_e32 v[20:21], s[16:17], v[22:23]
	v_fma_f64 v[22:23], v[40:41], s[10:11], -v[60:61]
	v_fma_f64 v[60:61], v[42:43], s[10:11], -v[80:81]
	;; [unrolled: 1-line block ×3, first 2 shown]
	v_fmac_f64_e32 v[44:45], s[14:15], v[48:49]
	v_fma_f64 v[42:43], v[42:43], s[20:21], -v[46:47]
	v_fmac_f64_e32 v[46:47], s[14:15], v[50:51]
	v_fma_f64 v[50:51], v[64:65], s[4:5], -v[88:89]
	v_fma_f64 v[48:49], v[76:77], s[4:5], -v[56:57]
	v_fmac_f64_e32 v[56:57], s[26:27], v[72:73]
	v_fmac_f64_e32 v[88:89], s[26:27], v[68:69]
	v_fma_f64 v[58:59], v[68:69], s[24:25], -v[58:59]
	v_fma_f64 v[64:65], v[72:73], s[24:25], -v[92:93]
	v_add_f64 v[68:69], v[44:45], v[98:99]
	v_add_f64 v[60:61], v[60:61], v[20:21]
	v_fmac_f64_e32 v[56:57], s[22:23], v[54:55]
	v_fmac_f64_e32 v[50:51], s[22:23], v[52:53]
	v_add_f64 v[72:73], v[46:47], v[20:21]
	v_add_f64 v[76:77], v[22:23], v[98:99]
	;; [unrolled: 1-line block ×4, first 2 shown]
	v_fmac_f64_e32 v[88:89], s[22:23], v[52:53]
	v_fmac_f64_e32 v[48:49], s[22:23], v[54:55]
	;; [unrolled: 1-line block ×4, first 2 shown]
	v_add_f64 v[20:21], v[56:57], v[68:69]
	v_add_f64 v[46:47], v[50:51], v[60:61]
	v_add_f64 v[50:51], v[60:61], -v[50:51]
	v_add_f64 v[56:57], v[68:69], -v[56:57]
	v_add_f64 v[60:61], v[62:63], v[96:97]
	v_add_f64 v[68:69], v[70:71], v[90:91]
	v_add_f64 v[22:23], v[72:73], -v[88:89]
	v_add_f64 v[40:41], v[64:65], v[80:81]
	v_add_f64 v[42:43], v[92:93], -v[58:59]
	v_add_f64 v[44:45], v[76:77], -v[48:49]
	v_add_f64 v[48:49], v[48:49], v[76:77]
	v_add_f64 v[52:53], v[80:81], -v[64:65]
	v_add_f64 v[54:55], v[58:59], v[92:93]
	v_add_f64 v[58:59], v[88:89], v[72:73]
	;; [unrolled: 1-line block ×5, first 2 shown]
	v_add_f64 v[78:79], v[84:85], -v[78:79]
	v_add_f64 v[84:85], v[68:69], v[60:61]
	v_add_f64 v[80:81], v[82:83], v[86:87]
	v_add_f64 v[82:83], v[86:87], -v[82:83]
	v_add_f64 v[86:87], v[72:73], v[64:65]
	v_add_f64 v[88:89], v[68:69], -v[60:61]
	v_add_f64 v[60:61], v[60:61], -v[76:77]
	;; [unrolled: 1-line block ×3, first 2 shown]
	v_add_f64 v[76:77], v[76:77], v[84:85]
	v_add_f64 v[62:63], v[62:63], -v[96:97]
	v_add_f64 v[66:67], v[66:67], -v[102:103]
	;; [unrolled: 1-line block ×7, first 2 shown]
	v_add_f64 v[80:81], v[80:81], v[86:87]
	v_add_f64 v[12:13], v[12:13], v[76:77]
	;; [unrolled: 1-line block ×4, first 2 shown]
	v_add_f64 v[96:97], v[78:79], -v[70:71]
	v_add_f64 v[98:99], v[82:83], -v[74:75]
	;; [unrolled: 1-line block ×4, first 2 shown]
	v_add_f64 v[14:15], v[14:15], v[80:81]
	v_mov_b64_e32 v[100:101], v[12:13]
	v_add_f64 v[78:79], v[62:63], -v[78:79]
	v_add_f64 v[82:83], v[66:67], -v[82:83]
	v_add_f64 v[62:63], v[92:93], v[62:63]
	v_add_f64 v[66:67], v[94:95], v[66:67]
	v_mul_f64 v[60:61], v[60:61], s[12:13]
	v_mul_f64 v[64:65], v[64:65], s[12:13]
	;; [unrolled: 1-line block ×8, first 2 shown]
	v_fmac_f64_e32 v[100:101], s[16:17], v[76:77]
	v_mov_b64_e32 v[76:77], v[14:15]
	v_fmac_f64_e32 v[76:77], s[16:17], v[80:81]
	v_fma_f64 v[80:81], v[88:89], s[10:11], -v[84:85]
	v_fma_f64 v[84:85], v[90:91], s[10:11], -v[86:87]
	;; [unrolled: 1-line block ×3, first 2 shown]
	v_fmac_f64_e32 v[60:61], s[14:15], v[68:69]
	v_fma_f64 v[68:69], v[90:91], s[20:21], -v[64:65]
	v_fmac_f64_e32 v[64:65], s[14:15], v[72:73]
	v_fma_f64 v[88:89], v[70:71], s[4:5], -v[92:93]
	;; [unrolled: 2-line block ×4, first 2 shown]
	v_fma_f64 v[82:83], v[82:83], s[24:25], -v[98:99]
	v_add_f64 v[90:91], v[60:61], v[100:101]
	v_add_f64 v[96:97], v[64:65], v[76:77]
	;; [unrolled: 1-line block ×6, first 2 shown]
	v_fmac_f64_e32 v[92:93], s[22:23], v[62:63]
	v_fmac_f64_e32 v[94:95], s[22:23], v[66:67]
	;; [unrolled: 1-line block ×6, first 2 shown]
	v_add_f64 v[60:61], v[94:95], v[90:91]
	v_add_f64 v[62:63], v[96:97], -v[92:93]
	v_add_f64 v[64:65], v[82:83], v[84:85]
	v_add_f64 v[66:67], v[86:87], -v[78:79]
	v_add_f64 v[68:69], v[74:75], -v[72:73]
	v_add_f64 v[70:71], v[88:89], v[80:81]
	v_add_f64 v[72:73], v[72:73], v[74:75]
	v_add_f64 v[74:75], v[80:81], -v[88:89]
	v_add_f64 v[76:77], v[84:85], -v[82:83]
	v_add_f64 v[78:79], v[78:79], v[86:87]
	v_add_f64 v[80:81], v[90:91], -v[94:95]
	v_add_f64 v[82:83], v[92:93], v[96:97]
	ds_write_b128 v132, v[16:19]
	ds_write_b128 v132, v[20:23] offset:2880
	ds_write_b128 v132, v[40:43] offset:5760
	;; [unrolled: 1-line block ×13, first 2 shown]
	s_and_saveexec_b64 s[28:29], vcc
	s_cbranch_execz .LBB0_31
; %bb.30:
	v_subrev_u32_e32 v12, 54, v110
	v_cndmask_b32_e32 v12, v12, v111, vcc
	v_mul_i32_i24_e32 v12, 6, v12
	v_mov_b32_e32 v13, 0
	v_lshl_add_u64 v[52:53], v[12:13], 4, s[8:9]
	global_load_dwordx4 v[12:15], v[52:53], off offset:2896
	global_load_dwordx4 v[16:19], v[52:53], off offset:2880
	;; [unrolled: 1-line block ×6, first 2 shown]
	s_waitcnt vmcnt(5)
	v_mul_f64 v[52:53], v[6:7], v[14:15]
	s_waitcnt vmcnt(4)
	v_mul_f64 v[54:55], v[38:39], v[18:19]
	;; [unrolled: 2-line block ×6, first 2 shown]
	v_mul_f64 v[18:19], v[36:37], v[18:19]
	v_mul_f64 v[14:15], v[4:5], v[14:15]
	v_mul_f64 v[22:23], v[28:29], v[22:23]
	v_mul_f64 v[42:43], v[32:33], v[42:43]
	v_mul_f64 v[46:47], v[24:25], v[46:47]
	v_mul_f64 v[50:51], v[0:1], v[50:51]
	v_fma_f64 v[28:29], v[28:29], v[20:21], -v[56:57]
	v_fma_f64 v[32:33], v[32:33], v[40:41], -v[58:59]
	;; [unrolled: 1-line block ×4, first 2 shown]
	v_fmac_f64_e32 v[18:19], v[38:39], v[16:17]
	v_fmac_f64_e32 v[14:15], v[6:7], v[12:13]
	;; [unrolled: 1-line block ×6, first 2 shown]
	v_fma_f64 v[4:5], v[4:5], v[12:13], -v[52:53]
	v_fma_f64 v[36:37], v[36:37], v[16:17], -v[54:55]
	v_add_f64 v[6:7], v[28:29], -v[32:33]
	v_add_f64 v[12:13], v[24:25], -v[0:1]
	v_add_f64 v[16:17], v[18:19], v[14:15]
	v_add_f64 v[20:21], v[22:23], v[42:43]
	;; [unrolled: 1-line block ×5, first 2 shown]
	v_add_f64 v[2:3], v[4:5], -v[36:37]
	v_add_f64 v[4:5], v[36:37], v[4:5]
	v_add_f64 v[14:15], v[14:15], -v[18:19]
	v_add_f64 v[18:19], v[22:23], -v[42:43]
	;; [unrolled: 1-line block ×3, first 2 shown]
	v_add_f64 v[36:37], v[20:21], v[26:27]
	v_add_f64 v[42:43], v[28:29], v[0:1]
	v_add_f64 v[22:23], v[46:47], -v[50:51]
	v_add_f64 v[24:25], v[2:3], v[6:7]
	v_add_f64 v[30:31], v[2:3], -v[6:7]
	v_add_f64 v[32:33], v[12:13], -v[2:3]
	;; [unrolled: 1-line block ×7, first 2 shown]
	v_mul_f64 v[6:7], v[34:35], s[12:13]
	v_add_f64 v[16:17], v[16:17], v[36:37]
	v_add_f64 v[4:5], v[4:5], v[42:43]
	;; [unrolled: 1-line block ×3, first 2 shown]
	v_add_f64 v[20:21], v[20:21], -v[26:27]
	v_add_f64 v[26:27], v[28:29], -v[0:1]
	v_add_f64 v[12:13], v[24:25], v[12:13]
	v_mul_f64 v[24:25], v[30:31], s[18:19]
	v_mul_f64 v[28:29], v[2:3], s[14:15]
	;; [unrolled: 1-line block ×5, first 2 shown]
	v_fma_f64 v[46:47], s[14:15], v[2:3], v[6:7]
	v_add_f64 v[2:3], v[10:11], v[16:17]
	v_add_f64 v[0:1], v[8:9], v[4:5]
	v_add_f64 v[36:37], v[44:45], v[22:23]
	v_fma_f64 v[44:45], s[26:27], v[32:33], v[24:25]
	v_fma_f64 v[32:33], v[32:33], s[24:25], -v[42:43]
	v_mov_b64_e32 v[42:43], v[2:3]
	v_mov_b64_e32 v[50:51], v[0:1]
	v_fmac_f64_e32 v[42:43], s[16:17], v[16:17]
	v_fmac_f64_e32 v[50:51], s[16:17], v[4:5]
	v_fma_f64 v[8:9], v[26:27], s[20:21], -v[34:35]
	v_add_f64 v[16:17], v[18:19], -v[22:23]
	v_add_f64 v[14:15], v[22:23], -v[14:15]
	v_fma_f64 v[10:11], s[14:15], v[38:39], v[34:35]
	v_add_f64 v[34:35], v[8:9], v[50:51]
	v_mul_f64 v[8:9], v[16:17], s[4:5]
	v_mul_f64 v[30:31], v[38:39], s[14:15]
	v_fma_f64 v[38:39], s[26:27], v[14:15], v[40:41]
	v_fma_f64 v[6:7], v[20:21], s[20:21], -v[6:7]
	v_fma_f64 v[56:57], v[14:15], s[24:25], -v[8:9]
	;; [unrolled: 1-line block ×4, first 2 shown]
	v_fmac_f64_e32 v[44:45], s[22:23], v[12:13]
	v_fmac_f64_e32 v[32:33], s[22:23], v[12:13]
	;; [unrolled: 1-line block ×3, first 2 shown]
	v_fma_f64 v[16:17], v[16:17], s[4:5], -v[40:41]
	v_fma_f64 v[12:13], v[26:27], s[10:11], -v[30:31]
	v_fmac_f64_e32 v[38:39], s[22:23], v[36:37]
	v_add_f64 v[46:47], v[46:47], v[42:43]
	v_add_f64 v[52:53], v[10:11], v[50:51]
	;; [unrolled: 1-line block ×3, first 2 shown]
	v_fmac_f64_e32 v[56:57], s[22:23], v[36:37]
	v_add_f64 v[18:19], v[14:15], v[42:43]
	v_fmac_f64_e32 v[16:17], s[22:23], v[36:37]
	v_add_f64 v[22:23], v[12:13], v[50:51]
	v_add_f64 v[6:7], v[44:45], v[46:47]
	v_add_f64 v[4:5], v[52:53], -v[38:39]
	v_add_f64 v[10:11], v[32:33], v[54:55]
	v_add_f64 v[8:9], v[34:35], -v[56:57]
	v_add_f64 v[14:15], v[18:19], -v[20:21]
	v_add_f64 v[12:13], v[16:17], v[22:23]
	v_add_f64 v[18:19], v[20:21], v[18:19]
	v_add_f64 v[16:17], v[22:23], -v[16:17]
	v_add_f64 v[22:23], v[54:55], -v[32:33]
	v_add_f64 v[20:21], v[56:57], v[34:35]
	v_add_f64 v[26:27], v[46:47], -v[44:45]
	v_add_f64 v[24:25], v[38:39], v[52:53]
	ds_write_b128 v132, v[0:3] offset:2016
	ds_write_b128 v132, v[24:27] offset:4896
	;; [unrolled: 1-line block ×7, first 2 shown]
.LBB0_31:
	s_or_b64 exec, exec, s[28:29]
	s_waitcnt lgkmcnt(0)
	; wave barrier
	s_waitcnt lgkmcnt(0)
	s_and_saveexec_b64 s[4:5], s[0:1]
	s_cbranch_execz .LBB0_33
; %bb.32:
	v_mul_lo_u32 v0, s3, v112
	v_mul_lo_u32 v1, s2, v113
	v_mad_u64_u32 v[4:5], s[0:1], s2, v112, 0
	v_lshl_add_u32 v12, v110, 4, 0
	v_add3_u32 v5, v5, v1, v0
	ds_read_b128 v[0:3], v12
	v_lshl_add_u64 v[4:5], v[4:5], 4, s[6:7]
	v_lshl_add_u64 v[8:9], v[108:109], 4, v[4:5]
	ds_read_b128 v[4:7], v12 offset:1008
	v_mov_b32_e32 v111, 0
	v_lshl_add_u64 v[10:11], v[110:111], 4, v[8:9]
	s_waitcnt lgkmcnt(1)
	global_store_dwordx4 v[10:11], v[0:3], off
	s_nop 1
	v_add_u32_e32 v0, 63, v110
	v_mov_b32_e32 v1, v111
	v_lshl_add_u64 v[0:1], v[0:1], 4, v[8:9]
	s_waitcnt lgkmcnt(0)
	global_store_dwordx4 v[0:1], v[4:7], off
	ds_read_b128 v[0:3], v12 offset:2016
	s_nop 0
	v_add_u32_e32 v4, 0x7e, v110
	v_mov_b32_e32 v5, v111
	v_lshl_add_u64 v[10:11], v[4:5], 4, v[8:9]
	ds_read_b128 v[4:7], v12 offset:3024
	s_waitcnt lgkmcnt(1)
	global_store_dwordx4 v[10:11], v[0:3], off
	s_nop 1
	v_add_u32_e32 v0, 0xbd, v110
	v_mov_b32_e32 v1, v111
	v_lshl_add_u64 v[0:1], v[0:1], 4, v[8:9]
	s_waitcnt lgkmcnt(0)
	global_store_dwordx4 v[0:1], v[4:7], off
	ds_read_b128 v[0:3], v12 offset:4032
	s_nop 0
	v_add_u32_e32 v4, 0xfc, v110
	v_mov_b32_e32 v5, v111
	v_lshl_add_u64 v[10:11], v[4:5], 4, v[8:9]
	ds_read_b128 v[4:7], v12 offset:5040
	;; [unrolled: 14-line block ×8, first 2 shown]
	s_waitcnt lgkmcnt(1)
	global_store_dwordx4 v[10:11], v[0:3], off
	v_add_u32_e32 v10, 0x46e, v110
	v_mov_b32_e32 v11, v111
	v_add_u32_e32 v0, 0x42f, v110
	v_mov_b32_e32 v1, v111
	v_lshl_add_u64 v[0:1], v[0:1], 4, v[8:9]
	s_waitcnt lgkmcnt(0)
	global_store_dwordx4 v[0:1], v[4:7], off
	ds_read_b128 v[0:3], v12 offset:18144
	ds_read_b128 v[4:7], v12 offset:19152
	v_lshl_add_u64 v[10:11], v[10:11], 4, v[8:9]
	v_add_u32_e32 v110, 0x4ad, v110
	s_waitcnt lgkmcnt(1)
	global_store_dwordx4 v[10:11], v[0:3], off
	s_nop 1
	v_lshl_add_u64 v[0:1], v[110:111], 4, v[8:9]
	s_waitcnt lgkmcnt(0)
	global_store_dwordx4 v[0:1], v[4:7], off
.LBB0_33:
	s_endpgm
	.section	.rodata,"a",@progbits
	.p2align	6, 0x0
	.amdhsa_kernel fft_rtc_fwd_len1260_factors_2_2_3_3_5_7_wgs_63_tpt_63_halfLds_dp_op_CI_CI_unitstride_sbrr_C2R_dirReg
		.amdhsa_group_segment_fixed_size 0
		.amdhsa_private_segment_fixed_size 0
		.amdhsa_kernarg_size 104
		.amdhsa_user_sgpr_count 2
		.amdhsa_user_sgpr_dispatch_ptr 0
		.amdhsa_user_sgpr_queue_ptr 0
		.amdhsa_user_sgpr_kernarg_segment_ptr 1
		.amdhsa_user_sgpr_dispatch_id 0
		.amdhsa_user_sgpr_kernarg_preload_length 0
		.amdhsa_user_sgpr_kernarg_preload_offset 0
		.amdhsa_user_sgpr_private_segment_size 0
		.amdhsa_uses_dynamic_stack 0
		.amdhsa_enable_private_segment 0
		.amdhsa_system_sgpr_workgroup_id_x 1
		.amdhsa_system_sgpr_workgroup_id_y 0
		.amdhsa_system_sgpr_workgroup_id_z 0
		.amdhsa_system_sgpr_workgroup_info 0
		.amdhsa_system_vgpr_workitem_id 0
		.amdhsa_next_free_vgpr 168
		.amdhsa_next_free_sgpr 30
		.amdhsa_accum_offset 168
		.amdhsa_reserve_vcc 1
		.amdhsa_float_round_mode_32 0
		.amdhsa_float_round_mode_16_64 0
		.amdhsa_float_denorm_mode_32 3
		.amdhsa_float_denorm_mode_16_64 3
		.amdhsa_dx10_clamp 1
		.amdhsa_ieee_mode 1
		.amdhsa_fp16_overflow 0
		.amdhsa_tg_split 0
		.amdhsa_exception_fp_ieee_invalid_op 0
		.amdhsa_exception_fp_denorm_src 0
		.amdhsa_exception_fp_ieee_div_zero 0
		.amdhsa_exception_fp_ieee_overflow 0
		.amdhsa_exception_fp_ieee_underflow 0
		.amdhsa_exception_fp_ieee_inexact 0
		.amdhsa_exception_int_div_zero 0
	.end_amdhsa_kernel
	.text
.Lfunc_end0:
	.size	fft_rtc_fwd_len1260_factors_2_2_3_3_5_7_wgs_63_tpt_63_halfLds_dp_op_CI_CI_unitstride_sbrr_C2R_dirReg, .Lfunc_end0-fft_rtc_fwd_len1260_factors_2_2_3_3_5_7_wgs_63_tpt_63_halfLds_dp_op_CI_CI_unitstride_sbrr_C2R_dirReg
                                        ; -- End function
	.section	.AMDGPU.csdata,"",@progbits
; Kernel info:
; codeLenInByte = 16096
; NumSgprs: 36
; NumVgprs: 168
; NumAgprs: 0
; TotalNumVgprs: 168
; ScratchSize: 0
; MemoryBound: 0
; FloatMode: 240
; IeeeMode: 1
; LDSByteSize: 0 bytes/workgroup (compile time only)
; SGPRBlocks: 4
; VGPRBlocks: 20
; NumSGPRsForWavesPerEU: 36
; NumVGPRsForWavesPerEU: 168
; AccumOffset: 168
; Occupancy: 3
; WaveLimiterHint : 1
; COMPUTE_PGM_RSRC2:SCRATCH_EN: 0
; COMPUTE_PGM_RSRC2:USER_SGPR: 2
; COMPUTE_PGM_RSRC2:TRAP_HANDLER: 0
; COMPUTE_PGM_RSRC2:TGID_X_EN: 1
; COMPUTE_PGM_RSRC2:TGID_Y_EN: 0
; COMPUTE_PGM_RSRC2:TGID_Z_EN: 0
; COMPUTE_PGM_RSRC2:TIDIG_COMP_CNT: 0
; COMPUTE_PGM_RSRC3_GFX90A:ACCUM_OFFSET: 41
; COMPUTE_PGM_RSRC3_GFX90A:TG_SPLIT: 0
	.text
	.p2alignl 6, 3212836864
	.fill 256, 4, 3212836864
	.type	__hip_cuid_c945d3a56c90fc47,@object ; @__hip_cuid_c945d3a56c90fc47
	.section	.bss,"aw",@nobits
	.globl	__hip_cuid_c945d3a56c90fc47
__hip_cuid_c945d3a56c90fc47:
	.byte	0                               ; 0x0
	.size	__hip_cuid_c945d3a56c90fc47, 1

	.ident	"AMD clang version 19.0.0git (https://github.com/RadeonOpenCompute/llvm-project roc-6.4.0 25133 c7fe45cf4b819c5991fe208aaa96edf142730f1d)"
	.section	".note.GNU-stack","",@progbits
	.addrsig
	.addrsig_sym __hip_cuid_c945d3a56c90fc47
	.amdgpu_metadata
---
amdhsa.kernels:
  - .agpr_count:     0
    .args:
      - .actual_access:  read_only
        .address_space:  global
        .offset:         0
        .size:           8
        .value_kind:     global_buffer
      - .offset:         8
        .size:           8
        .value_kind:     by_value
      - .actual_access:  read_only
        .address_space:  global
        .offset:         16
        .size:           8
        .value_kind:     global_buffer
      - .actual_access:  read_only
        .address_space:  global
        .offset:         24
        .size:           8
        .value_kind:     global_buffer
      - .actual_access:  read_only
        .address_space:  global
        .offset:         32
        .size:           8
        .value_kind:     global_buffer
      - .offset:         40
        .size:           8
        .value_kind:     by_value
      - .actual_access:  read_only
        .address_space:  global
        .offset:         48
        .size:           8
        .value_kind:     global_buffer
      - .actual_access:  read_only
        .address_space:  global
        .offset:         56
        .size:           8
        .value_kind:     global_buffer
      - .offset:         64
        .size:           4
        .value_kind:     by_value
      - .actual_access:  read_only
        .address_space:  global
        .offset:         72
        .size:           8
        .value_kind:     global_buffer
      - .actual_access:  read_only
        .address_space:  global
        .offset:         80
        .size:           8
        .value_kind:     global_buffer
      - .actual_access:  read_only
        .address_space:  global
        .offset:         88
        .size:           8
        .value_kind:     global_buffer
      - .actual_access:  write_only
        .address_space:  global
        .offset:         96
        .size:           8
        .value_kind:     global_buffer
    .group_segment_fixed_size: 0
    .kernarg_segment_align: 8
    .kernarg_segment_size: 104
    .language:       OpenCL C
    .language_version:
      - 2
      - 0
    .max_flat_workgroup_size: 63
    .name:           fft_rtc_fwd_len1260_factors_2_2_3_3_5_7_wgs_63_tpt_63_halfLds_dp_op_CI_CI_unitstride_sbrr_C2R_dirReg
    .private_segment_fixed_size: 0
    .sgpr_count:     36
    .sgpr_spill_count: 0
    .symbol:         fft_rtc_fwd_len1260_factors_2_2_3_3_5_7_wgs_63_tpt_63_halfLds_dp_op_CI_CI_unitstride_sbrr_C2R_dirReg.kd
    .uniform_work_group_size: 1
    .uses_dynamic_stack: false
    .vgpr_count:     168
    .vgpr_spill_count: 0
    .wavefront_size: 64
amdhsa.target:   amdgcn-amd-amdhsa--gfx950
amdhsa.version:
  - 1
  - 2
...

	.end_amdgpu_metadata
